;; amdgpu-corpus repo=ROCm/rocFFT kind=compiled arch=gfx1030 opt=O3
	.text
	.amdgcn_target "amdgcn-amd-amdhsa--gfx1030"
	.amdhsa_code_object_version 6
	.protected	bluestein_single_back_len1092_dim1_half_op_CI_CI ; -- Begin function bluestein_single_back_len1092_dim1_half_op_CI_CI
	.globl	bluestein_single_back_len1092_dim1_half_op_CI_CI
	.p2align	8
	.type	bluestein_single_back_len1092_dim1_half_op_CI_CI,@function
bluestein_single_back_len1092_dim1_half_op_CI_CI: ; @bluestein_single_back_len1092_dim1_half_op_CI_CI
; %bb.0:
	s_load_dwordx4 s[8:11], s[4:5], 0x28
	v_mul_u32_u24_e32 v1, 0x4ed, v0
	v_mov_b32_e32 v23, 0
	s_mov_b32 s0, exec_lo
	v_lshrrev_b32_e32 v1, 16, v1
	v_add_nc_u32_e32 v22, s6, v1
	s_waitcnt lgkmcnt(0)
	v_cmpx_gt_u64_e64 s[8:9], v[22:23]
	s_cbranch_execz .LBB0_31
; %bb.1:
	s_clause 0x1
	s_load_dwordx4 s[0:3], s[4:5], 0x18
	s_load_dwordx2 s[6:7], s[4:5], 0x0
	v_mul_lo_u16 v1, v1, 52
	v_sub_nc_u16 v2, v0, v1
	v_and_b32_e32 v86, 0xffff, v2
	v_lshlrev_b32_e32 v68, 2, v86
	s_waitcnt lgkmcnt(0)
	s_load_dwordx4 s[12:15], s[0:1], 0x0
	v_add_co_u32 v45, s0, s6, v68
	v_add_co_ci_u32_e64 v50, null, s7, 0, s0
	global_load_dword v89, v68, s[6:7]
	v_add_co_u32 v20, vcc_lo, 0x800, v45
	v_add_co_ci_u32_e32 v21, vcc_lo, 0, v50, vcc_lo
	v_add_nc_u32_e32 v14, 0xc00, v68
	v_add_nc_u32_e32 v15, 0x400, v68
	s_waitcnt lgkmcnt(0)
	v_mad_u64_u32 v[0:1], null, s14, v22, 0
	v_mad_u64_u32 v[3:4], null, s12, v86, 0
	s_mul_i32 s1, s13, 0x222
	s_mul_hi_u32 s9, s12, 0x222
	s_mul_i32 s0, s12, 0x222
	s_mul_i32 s14, s13, 0xfffffe12
	v_mad_u64_u32 v[5:6], null, s15, v22, v[1:2]
	s_add_i32 s1, s9, s1
	s_mul_i32 s8, s12, 0xfffffe12
	v_mad_u64_u32 v[6:7], null, s13, v86, v[4:5]
	v_mov_b32_e32 v1, v5
	s_mul_hi_u32 s13, s12, 0xfffffe12
	s_sub_i32 s9, s13, s12
	s_lshl_b64 s[12:13], s[0:1], 2
	v_lshlrev_b64 v[0:1], 2, v[0:1]
	v_mov_b32_e32 v4, v6
	s_add_i32 s9, s9, s14
	s_lshl_b64 s[0:1], s[8:9], 2
	v_add_co_u32 v0, vcc_lo, s10, v0
	v_lshlrev_b64 v[3:4], 2, v[3:4]
	v_add_co_ci_u32_e32 v1, vcc_lo, s11, v1, vcc_lo
	v_add_co_u32 v0, vcc_lo, v0, v3
	v_add_co_ci_u32_e32 v1, vcc_lo, v1, v4, vcc_lo
	v_add_co_u32 v3, vcc_lo, v0, s12
	v_add_co_ci_u32_e32 v4, vcc_lo, s13, v1, vcc_lo
	global_load_dword v7, v[0:1], off
	v_add_co_u32 v0, vcc_lo, v3, s0
	v_add_co_ci_u32_e32 v1, vcc_lo, s1, v4, vcc_lo
	global_load_dword v8, v[3:4], off
	global_load_dword v88, v[20:21], off offset:136
	global_load_dword v9, v[0:1], off
	v_add_co_u32 v0, vcc_lo, v0, s12
	v_add_co_ci_u32_e32 v1, vcc_lo, s13, v1, vcc_lo
	global_load_dword v87, v68, s[6:7] offset:208
	v_add_co_u32 v3, vcc_lo, v0, s0
	v_add_co_ci_u32_e32 v4, vcc_lo, s1, v1, vcc_lo
	global_load_dword v10, v[0:1], off
	s_clause 0x1
	global_load_dword v85, v[20:21], off offset:344
	global_load_dword v84, v68, s[6:7] offset:416
	global_load_dword v11, v[3:4], off
	v_add_co_u32 v0, vcc_lo, v3, s12
	v_add_co_ci_u32_e32 v1, vcc_lo, s13, v4, vcc_lo
	global_load_dword v83, v[20:21], off offset:552
	v_add_co_u32 v3, vcc_lo, v0, s0
	v_add_co_ci_u32_e32 v4, vcc_lo, s1, v1, vcc_lo
	global_load_dword v12, v[0:1], off
	v_add_co_u32 v0, vcc_lo, v3, s12
	v_add_co_ci_u32_e32 v1, vcc_lo, s13, v4, vcc_lo
	global_load_dword v13, v[3:4], off
	s_clause 0x1
	global_load_dword v82, v68, s[6:7] offset:624
	global_load_dword v81, v[20:21], off offset:760
	global_load_dword v16, v[0:1], off
	v_add_co_u32 v0, vcc_lo, v0, s0
	v_add_co_ci_u32_e32 v1, vcc_lo, s1, v1, vcc_lo
	global_load_dword v80, v68, s[6:7] offset:832
	v_add_co_u32 v3, vcc_lo, v0, s12
	v_add_co_ci_u32_e32 v4, vcc_lo, s13, v1, vcc_lo
	global_load_dword v17, v[0:1], off
	v_add_co_u32 v0, vcc_lo, v3, s0
	v_add_co_ci_u32_e32 v1, vcc_lo, s1, v4, vcc_lo
	global_load_dword v78, v68, s[6:7] offset:1040
	global_load_dword v18, v[3:4], off
	global_load_dword v79, v[20:21], off offset:968
	global_load_dword v19, v[0:1], off
	v_add_co_u32 v0, vcc_lo, v0, s12
	v_add_co_ci_u32_e32 v1, vcc_lo, s13, v1, vcc_lo
	global_load_dword v77, v[20:21], off offset:1176
	v_add_co_u32 v3, vcc_lo, v0, s0
	v_add_co_ci_u32_e32 v4, vcc_lo, s1, v1, vcc_lo
	global_load_dword v23, v[0:1], off
	v_add_co_u32 v0, vcc_lo, v3, s12
	v_add_co_ci_u32_e32 v1, vcc_lo, s13, v4, vcc_lo
	s_clause 0x1
	global_load_dword v76, v68, s[6:7] offset:1248
	global_load_dword v74, v68, s[6:7] offset:1456
	global_load_dword v24, v[3:4], off
	global_load_dword v72, v68, s[6:7] offset:1664
	global_load_dword v25, v[0:1], off
	v_add_co_u32 v0, vcc_lo, v0, s0
	v_add_co_ci_u32_e32 v1, vcc_lo, s1, v1, vcc_lo
	s_clause 0x1
	global_load_dword v75, v[20:21], off offset:1384
	global_load_dword v73, v[20:21], off offset:1592
	v_add_co_u32 v3, vcc_lo, v0, s12
	v_add_co_ci_u32_e32 v4, vcc_lo, s13, v1, vcc_lo
	global_load_dword v26, v[0:1], off
	v_add_co_u32 v0, vcc_lo, v3, s0
	v_add_co_ci_u32_e32 v1, vcc_lo, s1, v4, vcc_lo
	global_load_dword v27, v[3:4], off
	;; [unrolled: 3-line block ×3, first 2 shown]
	v_add_co_u32 v5, vcc_lo, v3, s0
	v_add_co_ci_u32_e32 v6, vcc_lo, s1, v4, vcc_lo
	v_add_co_u32 v0, vcc_lo, v5, s12
	v_add_co_ci_u32_e32 v1, vcc_lo, s13, v6, vcc_lo
	global_load_dword v29, v[3:4], off
	global_load_dword v71, v[20:21], off offset:1800
	global_load_dword v5, v[5:6], off
	global_load_dword v6, v[0:1], off
	s_clause 0x1
	global_load_dword v70, v68, s[6:7] offset:1872
	global_load_dword v69, v[20:21], off offset:2008
	s_load_dwordx2 s[6:7], s[4:5], 0x38
	s_load_dwordx4 s[8:11], s[2:3], 0x0
	v_add_nc_u32_e32 v3, 0x800, v68
	v_add_nc_u32_e32 v4, 0x200, v68
	v_cmp_gt_u16_e32 vcc_lo, 26, v2
	s_waitcnt vmcnt(38)
	v_lshrrev_b32_e32 v30, 16, v7
	v_mul_f16_sdwa v31, v89, v7 dst_sel:DWORD dst_unused:UNUSED_PAD src0_sel:WORD_1 src1_sel:DWORD
	s_waitcnt vmcnt(37)
	v_lshrrev_b32_e32 v33, 16, v8
	v_mul_f16_sdwa v32, v89, v30 dst_sel:DWORD dst_unused:UNUSED_PAD src0_sel:WORD_1 src1_sel:DWORD
	v_fma_f16 v30, v89, v30, -v31
	s_waitcnt vmcnt(36)
	v_mul_f16_sdwa v31, v88, v8 dst_sel:DWORD dst_unused:UNUSED_PAD src0_sel:WORD_1 src1_sel:DWORD
	s_waitcnt vmcnt(35)
	v_lshrrev_b32_e32 v34, 16, v9
	v_fmac_f16_e32 v32, v89, v7
	v_mul_f16_sdwa v7, v88, v33 dst_sel:DWORD dst_unused:UNUSED_PAD src0_sel:WORD_1 src1_sel:DWORD
	s_waitcnt vmcnt(34)
	v_mul_f16_sdwa v35, v87, v9 dst_sel:DWORD dst_unused:UNUSED_PAD src0_sel:WORD_1 src1_sel:DWORD
	v_fma_f16 v31, v88, v33, -v31
	s_waitcnt vmcnt(32)
	v_mul_f16_sdwa v33, v85, v10 dst_sel:DWORD dst_unused:UNUSED_PAD src0_sel:WORD_1 src1_sel:DWORD
	v_pack_b32_f16 v30, v32, v30
	v_fmac_f16_e32 v7, v88, v8
	v_mul_f16_sdwa v8, v87, v34 dst_sel:DWORD dst_unused:UNUSED_PAD src0_sel:WORD_1 src1_sel:DWORD
	v_lshrrev_b32_e32 v32, 16, v10
	v_fma_f16 v34, v87, v34, -v35
	v_pack_b32_f16 v7, v7, v31
	v_fmac_f16_e32 v8, v87, v9
	v_mul_f16_sdwa v9, v85, v32 dst_sel:DWORD dst_unused:UNUSED_PAD src0_sel:WORD_1 src1_sel:DWORD
	v_fma_f16 v31, v85, v32, -v33
	s_waitcnt vmcnt(30)
	v_lshrrev_b32_e32 v32, 16, v11
	v_mul_f16_sdwa v33, v84, v11 dst_sel:DWORD dst_unused:UNUSED_PAD src0_sel:WORD_1 src1_sel:DWORD
	ds_write_b32 v68, v7 offset:2184
	v_pack_b32_f16 v7, v8, v34
	v_fmac_f16_e32 v9, v85, v10
	v_mul_f16_sdwa v8, v84, v32 dst_sel:DWORD dst_unused:UNUSED_PAD src0_sel:WORD_1 src1_sel:DWORD
	v_fma_f16 v10, v84, v32, -v33
	s_waitcnt vmcnt(28)
	v_lshrrev_b32_e32 v32, 16, v12
	v_mul_f16_sdwa v33, v83, v12 dst_sel:DWORD dst_unused:UNUSED_PAD src0_sel:WORD_1 src1_sel:DWORD
	ds_write2_b32 v68, v30, v7 offset1:52
	v_pack_b32_f16 v7, v9, v31
	v_fmac_f16_e32 v8, v84, v11
	v_mul_f16_sdwa v9, v83, v32 dst_sel:DWORD dst_unused:UNUSED_PAD src0_sel:WORD_1 src1_sel:DWORD
	s_waitcnt vmcnt(27)
	v_lshrrev_b32_e32 v11, 16, v13
	v_fma_f16 v30, v83, v32, -v33
	s_waitcnt vmcnt(26)
	v_mul_f16_sdwa v31, v82, v13 dst_sel:DWORD dst_unused:UNUSED_PAD src0_sel:WORD_1 src1_sel:DWORD
	v_pack_b32_f16 v8, v8, v10
	v_fmac_f16_e32 v9, v83, v12
	v_mul_f16_sdwa v10, v82, v11 dst_sel:DWORD dst_unused:UNUSED_PAD src0_sel:WORD_1 src1_sel:DWORD
	s_waitcnt vmcnt(24)
	v_lshrrev_b32_e32 v12, 16, v16
	v_mul_f16_sdwa v32, v81, v16 dst_sel:DWORD dst_unused:UNUSED_PAD src0_sel:WORD_1 src1_sel:DWORD
	v_fma_f16 v11, v82, v11, -v31
	v_pack_b32_f16 v9, v9, v30
	v_fmac_f16_e32 v10, v82, v13
	v_mul_f16_sdwa v13, v81, v12 dst_sel:DWORD dst_unused:UNUSED_PAD src0_sel:WORD_1 src1_sel:DWORD
	s_waitcnt vmcnt(22)
	v_lshrrev_b32_e32 v30, 16, v17
	v_fma_f16 v12, v81, v12, -v32
	v_mul_f16_sdwa v31, v80, v17 dst_sel:DWORD dst_unused:UNUSED_PAD src0_sel:WORD_1 src1_sel:DWORD
	ds_write2_b32 v3, v7, v9 offset0:86 offset1:138
	v_pack_b32_f16 v7, v10, v11
	v_fmac_f16_e32 v13, v81, v16
	v_mul_f16_sdwa v9, v80, v30 dst_sel:DWORD dst_unused:UNUSED_PAD src0_sel:WORD_1 src1_sel:DWORD
	s_waitcnt vmcnt(20)
	v_lshrrev_b32_e32 v11, 16, v18
	v_fma_f16 v10, v80, v30, -v31
	s_waitcnt vmcnt(19)
	v_mul_f16_sdwa v16, v79, v18 dst_sel:DWORD dst_unused:UNUSED_PAD src0_sel:WORD_1 src1_sel:DWORD
	ds_write2_b32 v68, v8, v7 offset0:104 offset1:156
	v_pack_b32_f16 v7, v13, v12
	v_fmac_f16_e32 v9, v80, v17
	v_mul_f16_sdwa v8, v79, v11 dst_sel:DWORD dst_unused:UNUSED_PAD src0_sel:WORD_1 src1_sel:DWORD
	s_waitcnt vmcnt(18)
	v_lshrrev_b32_e32 v12, 16, v19
	v_fma_f16 v11, v79, v11, -v16
	v_mul_f16_sdwa v13, v78, v19 dst_sel:DWORD dst_unused:UNUSED_PAD src0_sel:WORD_1 src1_sel:DWORD
	v_pack_b32_f16 v9, v9, v10
	v_fmac_f16_e32 v8, v79, v18
	v_mul_f16_sdwa v10, v78, v12 dst_sel:DWORD dst_unused:UNUSED_PAD src0_sel:WORD_1 src1_sel:DWORD
	s_waitcnt vmcnt(16)
	v_lshrrev_b32_e32 v16, 16, v23
	v_mul_f16_sdwa v17, v77, v23 dst_sel:DWORD dst_unused:UNUSED_PAD src0_sel:WORD_1 src1_sel:DWORD
	v_fma_f16 v12, v78, v12, -v13
	v_pack_b32_f16 v8, v8, v11
	v_fmac_f16_e32 v10, v78, v19
	v_mul_f16_sdwa v11, v77, v16 dst_sel:DWORD dst_unused:UNUSED_PAD src0_sel:WORD_1 src1_sel:DWORD
	v_fma_f16 v13, v77, v16, -v17
	s_waitcnt vmcnt(13)
	v_lshrrev_b32_e32 v16, 16, v24
	v_mul_f16_sdwa v17, v76, v24 dst_sel:DWORD dst_unused:UNUSED_PAD src0_sel:WORD_1 src1_sel:DWORD
	ds_write2_b32 v3, v7, v8 offset0:190 offset1:242
	v_pack_b32_f16 v7, v10, v12
	v_fmac_f16_e32 v11, v77, v23
	v_mul_f16_sdwa v8, v76, v16 dst_sel:DWORD dst_unused:UNUSED_PAD src0_sel:WORD_1 src1_sel:DWORD
	s_waitcnt vmcnt(11)
	v_lshrrev_b32_e32 v12, 16, v25
	v_fma_f16 v10, v76, v16, -v17
	s_waitcnt vmcnt(10)
	v_mul_f16_sdwa v16, v75, v25 dst_sel:DWORD dst_unused:UNUSED_PAD src0_sel:WORD_1 src1_sel:DWORD
	ds_write2_b32 v4, v9, v7 offset0:80 offset1:132
	v_pack_b32_f16 v7, v11, v13
	v_fmac_f16_e32 v8, v76, v24
	v_mul_f16_sdwa v9, v75, v12 dst_sel:DWORD dst_unused:UNUSED_PAD src0_sel:WORD_1 src1_sel:DWORD
	s_waitcnt vmcnt(8)
	v_lshrrev_b32_e32 v11, 16, v26
	v_mul_f16_sdwa v13, v74, v26 dst_sel:DWORD dst_unused:UNUSED_PAD src0_sel:WORD_1 src1_sel:DWORD
	v_fma_f16 v12, v75, v12, -v16
	v_pack_b32_f16 v8, v8, v10
	v_fmac_f16_e32 v9, v75, v25
	v_mul_f16_sdwa v10, v74, v11 dst_sel:DWORD dst_unused:UNUSED_PAD src0_sel:WORD_1 src1_sel:DWORD
	s_waitcnt vmcnt(7)
	v_lshrrev_b32_e32 v16, 16, v27
	v_fma_f16 v11, v74, v11, -v13
	v_mul_f16_sdwa v13, v73, v27 dst_sel:DWORD dst_unused:UNUSED_PAD src0_sel:WORD_1 src1_sel:DWORD
	v_pack_b32_f16 v9, v9, v12
	v_fmac_f16_e32 v10, v74, v26
	v_mul_f16_sdwa v12, v73, v16 dst_sel:DWORD dst_unused:UNUSED_PAD src0_sel:WORD_1 src1_sel:DWORD
	s_waitcnt vmcnt(6)
	v_lshrrev_b32_e32 v17, 16, v28
	v_fma_f16 v13, v73, v16, -v13
	v_mul_f16_sdwa v16, v72, v28 dst_sel:DWORD dst_unused:UNUSED_PAD src0_sel:WORD_1 src1_sel:DWORD
	ds_write2_b32 v14, v7, v9 offset0:38 offset1:90
	v_pack_b32_f16 v7, v10, v11
	s_waitcnt vmcnt(5)
	v_lshrrev_b32_e32 v11, 16, v29
	v_mul_f16_sdwa v9, v72, v17 dst_sel:DWORD dst_unused:UNUSED_PAD src0_sel:WORD_1 src1_sel:DWORD
	v_fma_f16 v10, v72, v17, -v16
	s_waitcnt vmcnt(4)
	v_mul_f16_sdwa v16, v71, v29 dst_sel:DWORD dst_unused:UNUSED_PAD src0_sel:WORD_1 src1_sel:DWORD
	s_waitcnt vmcnt(3)
	v_lshrrev_b32_e32 v17, 16, v5
	s_waitcnt vmcnt(2)
	v_lshrrev_b32_e32 v18, 16, v6
	v_mul_f16_sdwa v19, v71, v11 dst_sel:DWORD dst_unused:UNUSED_PAD src0_sel:WORD_1 src1_sel:DWORD
	s_waitcnt vmcnt(0)
	v_mul_f16_sdwa v25, v69, v6 dst_sel:DWORD dst_unused:UNUSED_PAD src0_sel:WORD_1 src1_sel:DWORD
	v_fma_f16 v11, v71, v11, -v16
	v_mul_f16_sdwa v16, v70, v5 dst_sel:DWORD dst_unused:UNUSED_PAD src0_sel:WORD_1 src1_sel:DWORD
	v_mul_f16_sdwa v23, v70, v17 dst_sel:DWORD dst_unused:UNUSED_PAD src0_sel:WORD_1 src1_sel:DWORD
	;; [unrolled: 1-line block ×3, first 2 shown]
	v_fmac_f16_e32 v12, v73, v27
	v_fmac_f16_e32 v9, v72, v28
	;; [unrolled: 1-line block ×3, first 2 shown]
	v_fma_f16 v16, v70, v17, -v16
	v_fmac_f16_e32 v23, v70, v5
	v_fmac_f16_e32 v24, v69, v6
	v_fma_f16 v5, v69, v18, -v25
	v_pack_b32_f16 v6, v12, v13
	v_pack_b32_f16 v9, v9, v10
	;; [unrolled: 1-line block ×5, first 2 shown]
	ds_write2_b32 v15, v8, v7 offset0:56 offset1:108
	ds_write2_b32 v14, v6, v10 offset0:142 offset1:194
	;; [unrolled: 1-line block ×3, first 2 shown]
	ds_write_b32 v68, v5 offset:4056
	s_and_saveexec_b32 s2, vcc_lo
	s_cbranch_execz .LBB0_3
; %bb.2:
	v_add_co_u32 v0, s0, v0, s0
	v_add_co_ci_u32_e64 v1, s0, s1, v1, s0
	v_add_co_u32 v5, s0, v0, s12
	v_add_co_ci_u32_e64 v6, s0, s13, v1, s0
	global_load_dword v2, v[0:1], off
	global_load_dword v5, v[5:6], off
	v_add_co_u32 v0, s0, 0x1000, v45
	v_add_co_ci_u32_e64 v1, s0, 0, v50, s0
	s_clause 0x1
	global_load_dword v6, v[20:21], off offset:32
	global_load_dword v0, v[0:1], off offset:168
	s_waitcnt vmcnt(3)
	v_lshrrev_b32_e32 v1, 16, v2
	s_waitcnt vmcnt(2)
	v_lshrrev_b32_e32 v7, 16, v5
	s_waitcnt vmcnt(1)
	v_mul_f16_sdwa v8, v6, v2 dst_sel:DWORD dst_unused:UNUSED_PAD src0_sel:WORD_1 src1_sel:DWORD
	v_mul_f16_sdwa v9, v6, v1 dst_sel:DWORD dst_unused:UNUSED_PAD src0_sel:WORD_1 src1_sel:DWORD
	s_waitcnt vmcnt(0)
	v_mul_f16_sdwa v10, v0, v7 dst_sel:DWORD dst_unused:UNUSED_PAD src0_sel:WORD_1 src1_sel:DWORD
	v_mul_f16_sdwa v11, v0, v5 dst_sel:DWORD dst_unused:UNUSED_PAD src0_sel:WORD_1 src1_sel:DWORD
	v_fma_f16 v1, v6, v1, -v8
	v_fmac_f16_e32 v9, v6, v2
	v_fmac_f16_e32 v10, v0, v5
	v_fma_f16 v0, v0, v7, -v11
	v_pack_b32_f16 v1, v9, v1
	v_pack_b32_f16 v0, v10, v0
	ds_write_b32 v68, v1 offset:2080
	ds_write_b32 v68, v0 offset:4264
.LBB0_3:
	s_or_b32 exec_lo, exec_lo, s2
	v_add_nc_u32_e32 v2, 0xa00, v68
	s_waitcnt lgkmcnt(0)
	s_barrier
	buffer_gl0_inv
	ds_read2_b32 v[10:11], v68 offset1:52
	ds_read2_b32 v[0:1], v3 offset0:34 offset1:86
	ds_read2_b32 v[8:9], v68 offset0:104 offset1:156
	;; [unrolled: 1-line block ×9, first 2 shown]
                                        ; implicit-def: $vgpr23
                                        ; implicit-def: $vgpr24
	s_and_saveexec_b32 s0, vcc_lo
	s_cbranch_execz .LBB0_5
; %bb.4:
	ds_read_b32 v23, v68 offset:2080
	ds_read_b32 v24, v68 offset:4264
.LBB0_5:
	s_or_b32 exec_lo, exec_lo, s0
	s_load_dwordx2 s[2:3], s[4:5], 0x8
	v_add_co_u32 v40, null, v86, 52
	s_waitcnt lgkmcnt(0)
	v_pk_add_f16 v28, v10, v0 neg_lo:[0,1] neg_hi:[0,1]
	v_pk_add_f16 v30, v11, v1 neg_lo:[0,1] neg_hi:[0,1]
	v_add_co_u32 v39, null, 0x68, v86
	v_add_co_u32 v33, null, 0xd0, v86
	v_lshlrev_b32_e32 v25, 1, v86
	v_pk_add_f16 v16, v8, v16 neg_lo:[0,1] neg_hi:[0,1]
	v_pk_add_f16 v31, v9, v17 neg_lo:[0,1] neg_hi:[0,1]
	;; [unrolled: 1-line block ×3, first 2 shown]
	v_lshlrev_b32_e32 v93, 3, v86
	v_pk_fma_f16 v27, v10, 2.0, v28 op_sel_hi:[1,0,1] neg_lo:[0,0,1] neg_hi:[0,0,1]
	v_lshlrev_b32_e32 v94, 3, v40
	v_pk_fma_f16 v29, v11, 2.0, v30 op_sel_hi:[1,0,1] neg_lo:[0,0,1] neg_hi:[0,0,1]
	v_add_co_u32 v34, null, 0x104, v86
	v_add_co_u32 v35, null, 0x138, v86
	;; [unrolled: 1-line block ×3, first 2 shown]
	v_pk_add_f16 v19, v7, v19 neg_lo:[0,1] neg_hi:[0,1]
	v_pk_add_f16 v1, v23, v24 neg_lo:[0,1] neg_hi:[0,1]
	;; [unrolled: 1-line block ×3, first 2 shown]
	s_barrier
	buffer_gl0_inv
	ds_write_b64 v93, v[27:28]
	ds_write_b64 v94, v[29:30]
	v_lshlrev_b32_e32 v95, 3, v39
	v_pk_fma_f16 v15, v8, 2.0, v16 op_sel_hi:[1,0,1] neg_lo:[0,0,1] neg_hi:[0,0,1]
	v_pk_fma_f16 v30, v9, 2.0, v31 op_sel_hi:[1,0,1] neg_lo:[0,0,1] neg_hi:[0,0,1]
	v_lshlrev_b32_e32 v43, 2, v25
	v_lshlrev_b32_e32 v99, 3, v33
	v_pk_fma_f16 v17, v6, 2.0, v18 op_sel_hi:[1,0,1] neg_lo:[0,0,1] neg_hi:[0,0,1]
	v_pk_add_f16 v12, v4, v12 neg_lo:[0,1] neg_hi:[0,1]
	v_pk_add_f16 v24, v5, v13 neg_lo:[0,1] neg_hi:[0,1]
	v_pk_add_f16 v14, v2, v14 neg_lo:[0,1] neg_hi:[0,1]
	v_pk_fma_f16 v0, v23, 2.0, v1 op_sel_hi:[1,0,1] neg_lo:[0,0,1] neg_hi:[0,0,1]
	v_lshlrev_b32_e32 v44, 1, v40
	v_lshlrev_b32_e32 v47, 1, v39
	ds_write_b64 v95, v[15:16]
	v_add_nc_u32_e32 v48, 0x138, v25
	ds_write_b64 v43, v[30:31] offset:1248
	v_lshlrev_b32_e32 v27, 1, v33
	ds_write_b64 v99, v[17:18]
	v_lshlrev_b32_e32 v28, 1, v34
	v_lshlrev_b32_e32 v96, 3, v34
	v_pk_fma_f16 v18, v7, 2.0, v19 op_sel_hi:[1,0,1] neg_lo:[0,0,1] neg_hi:[0,0,1]
	v_lshlrev_b32_e32 v29, 1, v35
	v_lshlrev_b32_e32 v98, 3, v35
	v_add_nc_u32_e32 v111, 0x2d8, v25
	v_add_nc_u32_e32 v112, 0x340, v25
	;; [unrolled: 1-line block ×3, first 2 shown]
	v_lshlrev_b32_e32 v100, 3, v26
	v_pk_fma_f16 v11, v4, 2.0, v12 op_sel_hi:[1,0,1] neg_lo:[0,0,1] neg_hi:[0,0,1]
	v_pk_fma_f16 v23, v5, 2.0, v24 op_sel_hi:[1,0,1] neg_lo:[0,0,1] neg_hi:[0,0,1]
	;; [unrolled: 1-line block ×3, first 2 shown]
	v_add_nc_u32_e32 v2, 0x800, v43
	v_pk_fma_f16 v31, v3, 2.0, v32 op_sel_hi:[1,0,1] neg_lo:[0,0,1] neg_hi:[0,0,1]
	ds_write_b64 v96, v[18:19]
	ds_write_b64 v98, v[11:12]
	ds_write2_b64 v2, v[23:24], v[13:14] offset0:108 offset1:160
	ds_write_b64 v43, v[31:32] offset:3744
	s_and_saveexec_b32 s0, vcc_lo
	s_cbranch_execz .LBB0_7
; %bb.6:
	ds_write_b64 v100, v[0:1]
.LBB0_7:
	s_or_b32 exec_lo, exec_lo, s0
	v_add_nc_u32_e32 v6, 0x800, v68
	v_add_nc_u32_e32 v7, 0x200, v68
	;; [unrolled: 1-line block ×5, first 2 shown]
	s_waitcnt lgkmcnt(0)
	s_barrier
	buffer_gl0_inv
	ds_read2_b32 v[2:3], v68 offset1:52
	ds_read2_b32 v[12:13], v6 offset0:34 offset1:86
	ds_read2_b32 v[4:5], v68 offset0:104 offset1:156
	;; [unrolled: 1-line block ×9, first 2 shown]
	s_and_saveexec_b32 s0, vcc_lo
	s_cbranch_execz .LBB0_9
; %bb.8:
	ds_read_b32 v0, v68 offset:2080
	ds_read_b32 v1, v68 offset:4264
.LBB0_9:
	s_or_b32 exec_lo, exec_lo, s0
	v_and_b32_e32 v91, 1, v86
	s_waitcnt lgkmcnt(8)
	v_lshrrev_b32_e32 v31, 16, v12
	v_lshlrev_b32_e32 v97, 1, v26
	v_lshrrev_b32_e32 v33, 16, v13
	s_waitcnt lgkmcnt(6)
	v_lshrrev_b32_e32 v35, 16, v18
	v_lshlrev_b32_e32 v30, 2, v91
	v_and_or_b32 v25, 0x7c, v25, v91
	v_and_or_b32 v26, 0xfc, v44, v91
	;; [unrolled: 1-line block ×4, first 2 shown]
	global_load_dword v92, v30, s[2:3]
	v_and_or_b32 v60, 0x1fc, v47, v91
	v_and_or_b32 v29, 0x2fc, v29, v91
	v_lshrrev_b32_e32 v37, 16, v19
	v_and_or_b32 v61, 0x1fc, v48, v91
	v_and_or_b32 v62, 0x3fc, v111, v91
	s_waitcnt lgkmcnt(4)
	v_lshrrev_b32_e32 v41, 16, v23
	v_and_or_b32 v63, 0x3fc, v112, v91
	v_and_or_b32 v64, 0x7fc, v113, v91
	v_lshrrev_b32_e32 v46, 16, v24
	s_waitcnt lgkmcnt(2)
	v_lshrrev_b32_e32 v51, 16, v14
	v_lshrrev_b32_e32 v53, 16, v15
	s_waitcnt lgkmcnt(0)
	v_lshrrev_b32_e32 v55, 16, v16
	v_lshrrev_b32_e32 v57, 16, v17
	;; [unrolled: 1-line block ×3, first 2 shown]
	v_lshlrev_b32_e32 v106, 2, v25
	v_lshlrev_b32_e32 v107, 2, v26
	v_lshlrev_b32_e32 v110, 2, v27
	v_lshlrev_b32_e32 v101, 2, v28
	v_lshlrev_b32_e32 v108, 2, v60
	v_lshlrev_b32_e32 v102, 2, v29
	v_lshlrev_b32_e32 v109, 2, v61
	v_lshlrev_b32_e32 v103, 2, v62
	v_lshlrev_b32_e32 v104, 2, v63
	v_lshlrev_b32_e32 v105, 2, v64
	v_lshrrev_b32_e32 v30, 16, v2
	v_lshrrev_b32_e32 v32, 16, v3
	;; [unrolled: 1-line block ×11, first 2 shown]
	s_waitcnt vmcnt(0)
	s_barrier
	buffer_gl0_inv
	v_mul_f16_sdwa v25, v31, v92 dst_sel:DWORD dst_unused:UNUSED_PAD src0_sel:DWORD src1_sel:WORD_1
	v_mul_f16_sdwa v26, v12, v92 dst_sel:DWORD dst_unused:UNUSED_PAD src0_sel:DWORD src1_sel:WORD_1
	;; [unrolled: 1-line block ×22, first 2 shown]
	v_fma_f16 v12, v12, v92, -v25
	v_fmac_f16_e32 v26, v31, v92
	v_fma_f16 v13, v13, v92, -v27
	v_fmac_f16_e32 v28, v33, v92
	;; [unrolled: 2-line block ×11, first 2 shown]
	v_sub_f16_e32 v27, v2, v12
	v_sub_f16_e32 v29, v30, v26
	;; [unrolled: 1-line block ×22, first 2 shown]
	v_fma_f16 v1, v2, 2.0, -v27
	v_fma_f16 v2, v30, 2.0, -v29
	;; [unrolled: 1-line block ×22, first 2 shown]
	v_pack_b32_f16 v0, v27, v29
	v_pack_b32_f16 v1, v1, v2
	;; [unrolled: 1-line block ×20, first 2 shown]
	ds_write2_b32 v106, v1, v0 offset1:2
	ds_write2_b32 v107, v2, v7 offset1:2
	;; [unrolled: 1-line block ×10, first 2 shown]
	s_and_saveexec_b32 s0, vcc_lo
	s_cbranch_execz .LBB0_11
; %bb.10:
	v_and_or_b32 v0, 0x47c, v97, v91
	v_perm_b32 v1, v119, v19, 0x5040100
	v_perm_b32 v2, v116, v23, 0x5040100
	v_lshlrev_b32_e32 v0, 2, v0
	ds_write2_b32 v0, v1, v2 offset1:2
.LBB0_11:
	s_or_b32 exec_lo, exec_lo, s0
	v_add_nc_u32_e32 v1, 0x400, v68
	v_add_nc_u32_e32 v3, 0x600, v68
	;; [unrolled: 1-line block ×4, first 2 shown]
	s_waitcnt lgkmcnt(0)
	s_barrier
	buffer_gl0_inv
	ds_read2_b32 v[14:15], v68 offset1:84
	ds_read2_b32 v[35:36], v68 offset0:168 offset1:252
	ds_read2_b32 v[33:34], v1 offset0:80 offset1:164
	;; [unrolled: 1-line block ×5, first 2 shown]
	ds_read_b32 v123, v68 offset:4032
	v_cmp_gt_u16_e64 s0, 32, v86
                                        ; implicit-def: $vgpr127
                                        ; implicit-def: $vgpr37
                                        ; implicit-def: $vgpr125
                                        ; implicit-def: $vgpr126
                                        ; implicit-def: $vgpr124
                                        ; implicit-def: $vgpr128
	s_and_saveexec_b32 s1, s0
	s_cbranch_execz .LBB0_13
; %bb.12:
	ds_read2_b32 v[12:13], v68 offset0:52 offset1:136
	ds_read2_b32 v[16:17], v1 offset0:132 offset1:216
	v_add_nc_u32_e32 v1, 0x200, v68
	ds_read2_b32 v[18:19], v2 offset0:44 offset1:128
	v_add_nc_u32_e32 v2, 0xa00, v68
	ds_read2_b32 v[37:38], v0 offset0:124 offset1:208
	ds_read2_b32 v[25:26], v1 offset0:92 offset1:176
	;; [unrolled: 1-line block ×3, first 2 shown]
	ds_read_b32 v124, v68 offset:4240
	s_waitcnt lgkmcnt(6)
	v_lshrrev_b32_e32 v41, 16, v12
	v_lshrrev_b32_e32 v115, 16, v13
	s_waitcnt lgkmcnt(5)
	v_lshrrev_b32_e32 v114, 16, v16
	v_lshrrev_b32_e32 v120, 16, v17
	;; [unrolled: 3-line block ×6, first 2 shown]
	s_waitcnt lgkmcnt(0)
	v_lshrrev_b32_e32 v128, 16, v124
.LBB0_13:
	s_or_b32 exec_lo, exec_lo, s1
	v_and_b32_e32 v90, 3, v86
	s_waitcnt lgkmcnt(6)
	v_lshrrev_b32_e32 v143, 16, v15
	s_waitcnt lgkmcnt(5)
	v_lshrrev_b32_e32 v142, 16, v35
	;; [unrolled: 2-line block ×3, first 2 shown]
	v_lshrrev_b32_e32 v137, 16, v32
	v_mul_u32_u24_e32 v0, 12, v90
	v_lshrrev_b32_e32 v141, 16, v36
	v_lshrrev_b32_e32 v139, 16, v34
	;; [unrolled: 1-line block ×3, first 2 shown]
	s_waitcnt lgkmcnt(1)
	v_lshrrev_b32_e32 v133, 16, v28
	v_lshlrev_b32_e32 v8, 2, v0
	s_waitcnt lgkmcnt(0)
	v_lshrrev_b32_e32 v132, 16, v123
	v_lshrrev_b32_e32 v134, 16, v27
	;; [unrolled: 1-line block ×4, first 2 shown]
	s_clause 0x2
	global_load_dwordx4 v[4:7], v8, s[2:3] offset:8
	global_load_dwordx4 v[0:3], v8, s[2:3] offset:24
	;; [unrolled: 1-line block ×3, first 2 shown]
	s_waitcnt vmcnt(0)
	s_barrier
	buffer_gl0_inv
	v_mul_f16_sdwa v144, v143, v4 dst_sel:DWORD dst_unused:UNUSED_PAD src0_sel:DWORD src1_sel:WORD_1
	v_mul_f16_sdwa v131, v15, v4 dst_sel:DWORD dst_unused:UNUSED_PAD src0_sel:DWORD src1_sel:WORD_1
	;; [unrolled: 1-line block ×14, first 2 shown]
	v_fma_f16 v144, v15, v4, -v144
	v_fmac_f16_e32 v131, v143, v4
	v_mul_f16_sdwa v146, v141, v6 dst_sel:DWORD dst_unused:UNUSED_PAD src0_sel:DWORD src1_sel:WORD_1
	v_mul_f16_sdwa v129, v36, v6 dst_sel:DWORD dst_unused:UNUSED_PAD src0_sel:DWORD src1_sel:WORD_1
	;; [unrolled: 1-line block ×10, first 2 shown]
	v_fma_f16 v35, v35, v5, -v145
	v_fmac_f16_e32 v130, v142, v5
	v_fmac_f16_e32 v118, v139, v0
	v_fma_f16 v139, v31, v1, -v149
	v_fmac_f16_e32 v46, v138, v1
	v_fma_f16 v138, v32, v2, -v150
	v_fma_f16 v32, v25, v5, -v156
	v_fma_f16 v31, v26, v6, -v157
	v_fma_f16 v26, v18, v1, -v160
	v_fma_f16 v25, v19, v2, -v161
	v_fma_f16 v19, v23, v3, -v162
	v_fma_f16 v18, v24, v8, -v163
	v_add_f16_e32 v23, v14, v144
	v_add_f16_sdwa v24, v14, v131 dst_sel:DWORD dst_unused:UNUSED_PAD src0_sel:WORD_1 src1_sel:DWORD
	v_mul_f16_sdwa v147, v140, v7 dst_sel:DWORD dst_unused:UNUSED_PAD src0_sel:DWORD src1_sel:WORD_1
	v_mul_f16_sdwa v122, v33, v7 dst_sel:DWORD dst_unused:UNUSED_PAD src0_sel:DWORD src1_sel:WORD_1
	v_fma_f16 v36, v36, v6, -v146
	v_fmac_f16_e32 v129, v141, v6
	v_add_f16_e32 v23, v23, v35
	v_add_f16_e32 v24, v24, v130
	v_mul_f16_sdwa v65, v123, v11 dst_sel:DWORD dst_unused:UNUSED_PAD src0_sel:DWORD src1_sel:WORD_1
	v_fma_f16 v33, v33, v7, -v147
	v_fmac_f16_e32 v122, v140, v7
	v_add_f16_e32 v23, v23, v36
	v_add_f16_e32 v24, v24, v129
	v_mul_f16_sdwa v63, v27, v9 dst_sel:DWORD dst_unused:UNUSED_PAD src0_sel:DWORD src1_sel:WORD_1
	v_mul_f16_sdwa v154, v133, v10 dst_sel:DWORD dst_unused:UNUSED_PAD src0_sel:DWORD src1_sel:WORD_1
	;; [unrolled: 1-line block ×5, first 2 shown]
	v_fma_f16 v34, v34, v0, -v148
	v_fmac_f16_e32 v65, v132, v11
	v_add_f16_e32 v23, v23, v33
	v_add_f16_e32 v24, v24, v122
	v_mul_f16_sdwa v62, v30, v8 dst_sel:DWORD dst_unused:UNUSED_PAD src0_sel:DWORD src1_sel:WORD_1
	v_mul_f16_sdwa v153, v134, v9 dst_sel:DWORD dst_unused:UNUSED_PAD src0_sel:DWORD src1_sel:WORD_1
	;; [unrolled: 1-line block ×6, first 2 shown]
	v_fmac_f16_e32 v63, v134, v9
	v_fma_f16 v134, v28, v10, -v154
	v_fmac_f16_e32 v64, v133, v10
	v_fma_f16 v123, v123, v11, -v155
	v_fmac_f16_e32 v53, v114, v7
	v_sub_f16_e32 v114, v131, v65
	v_add_f16_e32 v23, v23, v34
	v_add_f16_e32 v24, v24, v118
	v_mul_f16_sdwa v151, v136, v3 dst_sel:DWORD dst_unused:UNUSED_PAD src0_sel:DWORD src1_sel:WORD_1
	v_mul_f16_sdwa v66, v29, v3 dst_sel:DWORD dst_unused:UNUSED_PAD src0_sel:DWORD src1_sel:WORD_1
	;; [unrolled: 1-line block ×8, first 2 shown]
	v_fmac_f16_e32 v61, v137, v2
	v_fmac_f16_e32 v62, v135, v8
	v_fma_f16 v135, v27, v9, -v153
	v_fmac_f16_e32 v51, v117, v5
	v_fma_f16 v27, v17, v0, -v159
	v_fmac_f16_e32 v55, v67, v1
	v_fmac_f16_e32 v56, v119, v2
	v_fma_f16 v17, v37, v9, -v164
	v_fmac_f16_e32 v60, v115, v4
	v_add_f16_e32 v37, v144, v123
	v_sub_f16_e32 v67, v144, v123
	v_add_f16_e32 v115, v35, v134
	v_sub_f16_e32 v117, v35, v134
	v_sub_f16_e32 v119, v130, v64
	v_mul_f16_e32 v35, 0xb770, v114
	v_add_f16_e32 v23, v23, v139
	v_add_f16_e32 v24, v24, v46
	v_mul_f16_sdwa v42, v38, v10 dst_sel:DWORD dst_unused:UNUSED_PAD src0_sel:DWORD src1_sel:WORD_1
	v_mul_f16_sdwa v49, v124, v11 dst_sel:DWORD dst_unused:UNUSED_PAD src0_sel:DWORD src1_sel:WORD_1
	v_fma_f16 v29, v29, v3, -v151
	v_fmac_f16_e32 v66, v136, v3
	v_fma_f16 v28, v16, v7, -v158
	v_fmac_f16_e32 v54, v120, v0
	v_fmac_f16_e32 v57, v116, v3
	;; [unrolled: 1-line block ×3, first 2 shown]
	v_fma_f16 v16, v38, v10, -v165
	v_fma_f16 v15, v124, v11, -v166
	v_add_f16_e32 v38, v131, v65
	v_add_f16_e32 v116, v130, v64
	;; [unrolled: 1-line block ×3, first 2 shown]
	v_sub_f16_e32 v124, v36, v135
	v_sub_f16_e32 v125, v129, v63
	v_mul_f16_e32 v130, 0xb770, v67
	v_mul_f16_e32 v140, 0xba95, v114
	v_mul_f16_e32 v141, 0xba95, v67
	v_mul_f16_e32 v142, 0xbbf1, v114
	v_mul_f16_e32 v143, 0xbbf1, v67
	v_mul_f16_e32 v144, 0xbb7b, v114
	v_mul_f16_e32 v145, 0xbb7b, v67
	v_mul_f16_e32 v146, 0xb94e, v114
	v_mul_f16_e32 v147, 0xb94e, v67
	v_mul_f16_e32 v114, 0xb3a8, v114
	v_mul_f16_e32 v67, 0xb3a8, v67
	v_mul_f16_e32 v148, 0xba95, v119
	v_fma_f16 v36, v37, 0x3b15, -v35
	v_add_f16_e32 v23, v23, v138
	v_add_f16_e32 v24, v24, v61
	v_fma_f16 v30, v30, v8, -v152
	v_fmac_f16_e32 v52, v121, v6
	v_fmac_f16_e32 v42, v126, v10
	v_add_f16_e32 v121, v129, v63
	v_sub_f16_e32 v126, v122, v62
	v_mul_f16_e32 v149, 0xba95, v117
	v_mul_f16_e32 v150, 0xbb7b, v119
	;; [unrolled: 1-line block ×12, first 2 shown]
	v_fmamk_f16 v129, v38, 0x3b15, v130
	v_fmac_f16_e32 v35, 0x3b15, v37
	v_fma_f16 v130, v38, 0x3b15, -v130
	v_fma_f16 v180, v37, 0x388b, -v140
	v_fmamk_f16 v181, v38, 0x388b, v141
	v_fmac_f16_e32 v140, 0x388b, v37
	v_fma_f16 v141, v38, 0x388b, -v141
	v_fma_f16 v182, v37, 0x2fb7, -v142
	;; [unrolled: 4-line block ×6, first 2 shown]
	v_add_f16_e32 v36, v14, v36
	v_add_f16_e32 v23, v23, v29
	;; [unrolled: 1-line block ×3, first 2 shown]
	v_fmac_f16_e32 v58, v127, v8
	v_fmac_f16_e32 v49, v128, v11
	v_fma_f16 v13, v13, v4, -v167
	v_add_f16_e32 v127, v33, v30
	v_sub_f16_e32 v128, v33, v30
	v_sub_f16_e32 v132, v118, v66
	v_mul_f16_e32 v159, 0xb3a8, v125
	v_mul_f16_e32 v160, 0x3b7b, v125
	;; [unrolled: 1-line block ×12, first 2 shown]
	v_fmamk_f16 v67, v116, 0x388b, v149
	v_fmac_f16_e32 v148, 0x388b, v115
	v_fma_f16 v149, v116, 0x388b, -v149
	v_fma_f16 v190, v115, 0xb5ac, -v150
	v_fmamk_f16 v191, v116, 0xb5ac, v151
	v_fmac_f16_e32 v150, 0xb5ac, v115
	v_fma_f16 v151, v116, 0xb5ac, -v151
	v_fma_f16 v192, v115, 0xbbc4, -v152
	;; [unrolled: 4-line block ×6, first 2 shown]
	v_add_f16_sdwa v129, v14, v129 dst_sel:DWORD dst_unused:UNUSED_PAD src0_sel:WORD_1 src1_sel:DWORD
	v_add_f16_sdwa v130, v14, v130 dst_sel:DWORD dst_unused:UNUSED_PAD src0_sel:WORD_1 src1_sel:DWORD
	v_add_f16_e32 v33, v38, v36
	v_add_f16_e32 v23, v23, v30
	;; [unrolled: 1-line block ×5, first 2 shown]
	v_sub_f16_e32 v136, v34, v29
	v_mul_f16_e32 v169, 0x394e, v126
	v_mul_f16_e32 v170, 0x3770, v126
	;; [unrolled: 1-line block ×12, first 2 shown]
	v_fmac_f16_e32 v158, 0x2fb7, v120
	v_fma_f16 v117, v120, 0xbbc4, -v159
	v_fmac_f16_e32 v159, 0xbbc4, v120
	v_fma_f16 v200, v120, 0xb5ac, -v160
	;; [unrolled: 2-line block ×5, first 2 shown]
	v_fmac_f16_e32 v125, 0xb9fd, v120
	v_fmamk_f16 v120, v121, 0x2fb7, v163
	v_fma_f16 v163, v121, 0x2fb7, -v163
	v_fmamk_f16 v204, v121, 0xbbc4, v164
	v_fma_f16 v164, v121, 0xbbc4, -v164
	;; [unrolled: 2-line block ×6, first 2 shown]
	v_fma_f16 v124, v127, 0xb5ac, -v168
	v_add_f16_e32 v35, v14, v35
	v_add_f16_e32 v180, v14, v180
	v_add_f16_sdwa v181, v14, v181 dst_sel:DWORD dst_unused:UNUSED_PAD src0_sel:WORD_1 src1_sel:DWORD
	v_add_f16_e32 v140, v14, v140
	v_add_f16_sdwa v141, v14, v141 dst_sel:DWORD dst_unused:UNUSED_PAD src0_sel:WORD_1 src1_sel:DWORD
	;; [unrolled: 2-line block ×10, first 2 shown]
	v_add_f16_e32 v36, v67, v129
	v_add_f16_e32 v37, v149, v130
	;; [unrolled: 1-line block ×6, first 2 shown]
	v_mul_f16_e32 v179, 0xb94e, v136
	v_fmac_f16_e32 v168, 0xb5ac, v127
	v_fma_f16 v209, v127, 0xb9fd, -v169
	v_fmac_f16_e32 v169, 0xb9fd, v127
	v_fma_f16 v210, v127, 0x3b15, -v170
	;; [unrolled: 2-line block ×5, first 2 shown]
	v_fmac_f16_e32 v126, 0x388b, v127
	v_fmamk_f16 v127, v131, 0xb5ac, v173
	v_fma_f16 v173, v131, 0xb5ac, -v173
	v_fmamk_f16 v214, v131, 0xb9fd, v174
	v_fma_f16 v174, v131, 0xb9fd, -v174
	;; [unrolled: 2-line block ×6, first 2 shown]
	v_fma_f16 v131, v133, 0xb9fd, -v178
	v_add_f16_e32 v38, v190, v180
	v_add_f16_e32 v67, v191, v181
	v_add_f16_e32 v122, v150, v140
	v_add_f16_e32 v114, v119, v114
	v_add_f16_e32 v34, v120, v36
	v_add_f16_e32 v36, v163, v37
	v_add_f16_e32 v33, v124, v33
	v_add_f16_e32 v23, v23, v134
	v_add_f16_e32 v24, v24, v64
	v_add_f16_e32 v129, v151, v141
	v_add_f16_e32 v130, v192, v182
	v_add_f16_e32 v37, v117, v38
	v_add_f16_e32 v38, v204, v67
	v_add_f16_e32 v67, v159, v122
	v_add_f16_e32 v114, v125, v114
	v_add_f16_e32 v34, v127, v34
	v_add_f16_e32 v36, v173, v36
	v_add_f16_e32 v123, v23, v123
	v_add_f16_e32 v135, v24, v65
	v_add_f16_e32 v23, v131, v33
	v_fmamk_f16 v24, v137, 0xb9fd, v179
	v_mul_f16_e32 v33, 0x3bf1, v132
	v_fma_f16 v65, v137, 0xb9fd, -v179
	v_mul_f16_e32 v125, 0x3bf1, v136
	v_add_f16_e32 v140, v193, v183
	v_add_f16_e32 v141, v152, v142
	;; [unrolled: 1-line block ×12, first 2 shown]
	v_fma_f16 v34, v133, 0x2fb7, -v33
	v_add_f16_e32 v36, v65, v36
	v_fmamk_f16 v65, v137, 0x2fb7, v125
	v_mul_f16_e32 v126, 0xba95, v132
	v_fmac_f16_e32 v33, 0x2fb7, v133
	v_add_f16_e32 v35, v148, v35
	v_add_f16_e32 v148, v195, v185
	;; [unrolled: 1-line block ×11, first 2 shown]
	v_fma_f16 v37, v137, 0x2fb7, -v125
	v_add_f16_e32 v38, v65, v38
	v_fma_f16 v65, v133, 0x388b, -v126
	v_mul_f16_e32 v125, 0xba95, v136
	v_add_f16_e32 v33, v33, v67
	v_mul_f16_e32 v67, 0x33a8, v132
	v_add_f16_e32 v150, v197, v187
	v_add_f16_e32 v146, v156, v146
	;; [unrolled: 1-line block ×11, first 2 shown]
	v_fmamk_f16 v115, v137, 0x388b, v125
	v_fmac_f16_e32 v126, 0x388b, v133
	v_fma_f16 v116, v137, 0x388b, -v125
	v_fma_f16 v125, v133, 0xbbc4, -v67
	v_mul_f16_e32 v127, 0x33a8, v136
	v_add_f16_e32 v149, v196, v186
	v_add_f16_e32 v151, v198, v188
	;; [unrolled: 1-line block ×11, first 2 shown]
	v_fmamk_f16 v118, v137, 0xbbc4, v127
	v_mul_f16_e32 v119, 0x3770, v132
	v_fmac_f16_e32 v67, 0xbbc4, v133
	v_fma_f16 v125, v137, 0xbbc4, -v127
	v_mul_f16_e32 v126, 0x3770, v136
	v_add_f16_e32 v147, v157, v147
	v_add_f16_e32 v140, v202, v149
	;; [unrolled: 1-line block ×7, first 2 shown]
	v_fma_f16 v118, v133, 0x3b15, -v119
	v_add_f16_e32 v67, v67, v120
	v_add_f16_e32 v30, v125, v30
	v_fmamk_f16 v120, v137, 0x3b15, v126
	v_mul_f16_e32 v125, 0xbb7b, v132
	v_fmac_f16_e32 v119, 0x3b15, v133
	v_add_f16_e32 v152, v199, v189
	v_add_f16_e32 v143, v167, v147
	;; [unrolled: 1-line block ×5, first 2 shown]
	v_fma_f16 v121, v133, 0xb5ac, -v125
	v_add_f16_e32 v63, v119, v63
	v_sub_f16_e32 v119, v46, v61
	v_add_f16_e32 v35, v158, v35
	v_add_f16_e32 v145, v208, v152
	;; [unrolled: 1-line block ×5, first 2 shown]
	v_fma_f16 v118, v137, 0x3b15, -v126
	v_mul_f16_e32 v126, 0xbb7b, v136
	v_add_f16_e32 v121, v121, v124
	v_add_f16_e32 v124, v139, v138
	v_sub_f16_e32 v127, v139, v138
	v_mul_f16_e32 v128, 0xb3a8, v119
	v_add_f16_e32 v35, v168, v35
	v_add_f16_e32 v64, v218, v145
	v_fmac_f16_e32 v178, 0xb9fd, v133
	v_add_f16_e32 v118, v118, v122
	v_fmamk_f16 v122, v137, 0xb5ac, v126
	v_fmac_f16_e32 v125, 0xb5ac, v133
	v_fma_f16 v126, v137, 0xb5ac, -v126
	v_add_f16_e32 v61, v46, v61
	v_mul_f16_e32 v46, 0xb3a8, v127
	v_fma_f16 v129, v124, 0xbbc4, -v128
	v_add_f16_e32 v35, v178, v35
	v_add_f16_e32 v64, v122, v64
	v_add_f16_e32 v122, v125, v114
	v_add_f16_e32 v125, v126, v14
	v_fmamk_f16 v14, v61, 0xbbc4, v46
	v_add_f16_e32 v137, v129, v23
	v_mul_f16_e32 v23, 0x3770, v119
	v_fmac_f16_e32 v128, 0xbbc4, v124
	v_fma_f16 v114, v61, 0xbbc4, -v46
	v_add_f16_e32 v141, v14, v24
	v_mul_f16_e32 v14, 0x3770, v127
	v_fma_f16 v24, v124, 0x3b15, -v23
	v_add_f16_e32 v46, v128, v35
	v_mul_f16_e32 v35, 0xb94e, v119
	v_add_f16_e32 v114, v114, v36
	v_fmamk_f16 v36, v61, 0x3b15, v14
	v_add_f16_e32 v143, v24, v34
	v_fma_f16 v14, v61, 0x3b15, -v14
	v_fma_f16 v24, v124, 0xb9fd, -v35
	v_mul_f16_e32 v34, 0xb94e, v127
	v_fmac_f16_e32 v23, 0x3b15, v124
	v_fmac_f16_e32 v35, 0xb9fd, v124
	v_add_f16_e32 v155, v14, v37
	v_add_f16_e32 v149, v24, v65
	v_mul_f16_e32 v14, 0x3a95, v119
	v_fma_f16 v24, v61, 0xb9fd, -v34
	v_add_f16_e32 v153, v23, v33
	v_fmamk_f16 v23, v61, 0xb9fd, v34
	v_mul_f16_e32 v33, 0x3a95, v127
	v_fma_f16 v34, v124, 0x388b, -v14
	v_add_f16_e32 v161, v24, v116
	v_mul_f16_e32 v24, 0xbb7b, v119
	v_add_f16_e32 v156, v23, v115
	v_fmamk_f16 v23, v61, 0x388b, v33
	v_add_f16_e32 v162, v34, v29
	v_fma_f16 v29, v61, 0x388b, -v33
	v_fma_f16 v33, v124, 0xb5ac, -v24
	v_fmac_f16_e32 v24, 0xb5ac, v124
	v_sub_f16_e32 v138, v60, v49
	v_sub_f16_e32 v131, v13, v15
	v_add_f16_e32 v171, v29, v30
	v_mul_f16_e32 v29, 0x3bf1, v119
	v_add_f16_e32 v119, v33, v62
	v_mul_f16_e32 v33, 0x3bf1, v127
	v_add_f16_e32 v174, v24, v63
	v_add_f16_e32 v146, v36, v38
	;; [unrolled: 1-line block ×3, first 2 shown]
	v_fmac_f16_e32 v14, 0x388b, v124
	v_fmamk_f16 v24, v61, 0x2fb7, v33
	v_add_f16_e32 v165, v23, v66
	v_mul_f16_e32 v23, 0xbb7b, v127
	v_add_f16_e32 v126, v13, v15
	v_add_f16_e32 v142, v60, v49
	;; [unrolled: 1-line block ×3, first 2 shown]
	v_fma_f16 v24, v61, 0x2fb7, -v33
	v_mul_f16_e32 v34, 0xba95, v138
	v_mul_f16_e32 v35, 0xba95, v131
	;; [unrolled: 1-line block ×3, first 2 shown]
	v_add_f16_e32 v170, v14, v67
	v_fmamk_f16 v14, v61, 0xb5ac, v23
	v_add_f16_e32 v175, v24, v125
	v_fmamk_f16 v24, v126, 0x388b, v34
	v_mul_f16_e32 v36, 0xbbf1, v138
	v_fma_f16 v33, v142, 0x388b, -v35
	v_mul_f16_e32 v62, 0xbb7b, v138
	v_fma_f16 v37, v142, 0x2fb7, -v38
	;; [unrolled: 2-line block ×3, first 2 shown]
	v_fma_f16 v30, v124, 0x2fb7, -v29
	v_add_f16_e32 v120, v14, v120
	v_mul_f16_e32 v14, 0xb770, v138
	v_add_f16_e32 v63, v12, v24
	v_fmamk_f16 v24, v126, 0x2fb7, v36
	v_add_f16_e32 v65, v41, v33
	v_fmamk_f16 v33, v126, 0xb5ac, v62
	v_mul_f16_e32 v67, 0xbb7b, v131
	v_add_f16_e32 v116, v41, v37
	v_sub_f16_e32 v144, v51, v42
	v_fmamk_f16 v37, v126, 0xb9fd, v129
	v_add_f16_e32 v118, v23, v118
	v_add_f16_e32 v121, v30, v121
	v_fmac_f16_e32 v29, 0x2fb7, v124
	v_mul_f16_e32 v23, 0xb770, v131
	v_fmamk_f16 v30, v126, 0x3b15, v14
	v_add_f16_e32 v66, v12, v24
	v_add_f16_e32 v127, v12, v33
	v_fma_f16 v33, v142, 0xb5ac, -v67
	v_add_f16_e32 v132, v32, v16
	v_mul_f16_e32 v24, 0xba95, v144
	v_sub_f16_e32 v139, v32, v16
	v_add_f16_e32 v158, v12, v37
	v_mul_f16_e32 v37, 0xbb7b, v144
	v_add_f16_e32 v122, v29, v122
	v_fma_f16 v29, v142, 0x3b15, -v23
	v_add_f16_e32 v30, v12, v30
	v_add_f16_e32 v150, v41, v33
	;; [unrolled: 1-line block ×3, first 2 shown]
	v_fmamk_f16 v61, v132, 0x388b, v24
	v_mul_f16_e32 v33, 0xba95, v139
	v_fmamk_f16 v124, v132, 0xb5ac, v37
	v_mul_f16_e32 v115, 0xb3a8, v139
	v_add_f16_e32 v29, v41, v29
	v_add_f16_e32 v160, v61, v30
	v_fma_f16 v30, v147, 0x388b, -v33
	v_mul_f16_e32 v61, 0xbb7b, v139
	v_mul_f16_e32 v64, 0xb3a8, v144
	v_add_f16_e32 v130, v124, v63
	v_fma_f16 v63, v147, 0xbbc4, -v115
	v_sub_f16_e32 v151, v52, v59
	v_add_f16_e32 v164, v30, v29
	v_fma_f16 v29, v147, 0xb5ac, -v61
	v_fmamk_f16 v30, v132, 0xbbc4, v64
	v_mul_f16_e32 v125, 0x394e, v144
	v_add_f16_e32 v169, v63, v116
	v_add_f16_e32 v140, v31, v17
	v_mul_f16_e32 v63, 0xb3a8, v151
	v_mul_f16_e32 v124, 0x3b7b, v151
	v_sub_f16_e32 v154, v53, v58
	v_add_f16_e32 v168, v29, v65
	v_add_f16_e32 v29, v30, v66
	v_fmamk_f16 v30, v132, 0xb9fd, v125
	v_fmamk_f16 v66, v140, 0xbbc4, v63
	;; [unrolled: 1-line block ×3, first 2 shown]
	v_add_f16_e32 v145, v28, v18
	v_mul_f16_e32 v65, 0x394e, v154
	v_mul_f16_e32 v128, 0x3770, v154
	v_sub_f16_e32 v159, v54, v57
	v_add_f16_e32 v172, v30, v127
	v_add_f16_e32 v127, v66, v130
	;; [unrolled: 1-line block ×3, first 2 shown]
	v_fmamk_f16 v116, v145, 0xb9fd, v65
	v_fmamk_f16 v130, v145, 0x3b15, v128
	v_add_f16_e32 v148, v27, v19
	v_mul_f16_e32 v66, 0x3bf1, v159
	v_mul_f16_e32 v133, 0xba95, v159
	v_sub_f16_e32 v163, v55, v56
	v_mul_f16_e32 v134, 0x394e, v139
	v_add_f16_e32 v116, v116, v127
	v_add_f16_e32 v29, v130, v29
	v_fmamk_f16 v166, v148, 0x2fb7, v66
	v_fmamk_f16 v173, v148, 0x388b, v133
	v_add_f16_e32 v152, v26, v25
	v_mul_f16_e32 v127, 0x3770, v163
	v_lshrrev_b32_e32 v178, 2, v86
	v_fma_f16 v30, v147, 0xb9fd, -v134
	v_mul_f16_e32 v130, 0xb94e, v163
	v_mul_f16_e32 v157, 0x3bf1, v144
	v_add_f16_e32 v116, v166, v116
	v_add_f16_e32 v29, v173, v29
	v_fmamk_f16 v173, v152, 0x3b15, v127
	v_mul_u32_u24_e32 v178, 52, v178
	v_fmamk_f16 v176, v152, 0xb9fd, v130
	v_add_f16_e32 v180, v30, v150
	v_fmamk_f16 v150, v132, 0x2fb7, v157
	v_add_f16_e32 v30, v173, v116
	v_or_b32_e32 v116, v178, v90
	v_pack_b32_f16 v123, v123, v135
	v_mul_f16_e32 v135, 0xbbf1, v151
	v_sub_f16_e32 v173, v31, v17
	v_mul_f16_e32 v136, 0xb94e, v131
	v_add_f16_e32 v29, v176, v29
	v_add_f16_e32 v176, v150, v158
	v_add_f16_e32 v182, v52, v59
	v_lshlrev_b32_e32 v116, 2, v116
	v_pack_b32_f16 v141, v137, v141
	v_fmamk_f16 v150, v140, 0x2fb7, v135
	v_mul_f16_e32 v137, 0xbbf1, v173
	v_fma_f16 v177, v142, 0xb9fd, -v136
	v_mul_f16_e32 v166, 0x3bf1, v139
	ds_write2_b32 v116, v123, v141 offset1:4
	v_add_f16_e32 v123, v150, v160
	v_fma_f16 v141, v182, 0x2fb7, -v137
	v_mul_f16_e32 v150, 0xb3a8, v173
	v_mul_f16_e32 v158, 0x3b7b, v173
	v_add_f16_e32 v177, v41, v177
	v_fma_f16 v179, v147, 0x2fb7, -v166
	v_pack_b32_f16 v143, v143, v146
	v_pack_b32_f16 v146, v149, v156
	v_add_f16_e32 v149, v141, v164
	v_fma_f16 v141, v182, 0xbbc4, -v150
	v_fma_f16 v156, v182, 0xb5ac, -v158
	v_mul_f16_e32 v160, 0x3770, v151
	v_add_f16_e32 v177, v179, v177
	ds_write2_b32 v116, v143, v146 offset0:8 offset1:12
	v_add_f16_e32 v146, v141, v168
	v_add_f16_e32 v178, v156, v169
	v_fmamk_f16 v141, v140, 0x3b15, v160
	v_mul_f16_e32 v169, 0xba95, v151
	v_sub_f16_e32 v179, v28, v18
	v_mul_f16_e32 v164, 0x3770, v173
	v_pack_b32_f16 v156, v162, v165
	v_pack_b32_f16 v119, v119, v120
	v_add_f16_e32 v120, v141, v172
	v_mul_f16_e32 v172, 0xba95, v173
	v_add_f16_e32 v186, v53, v58
	v_mul_f16_e32 v143, 0xbb7b, v179
	v_fmamk_f16 v165, v140, 0x388b, v169
	v_fma_f16 v162, v182, 0x3b15, -v164
	v_mul_f16_e32 v141, 0xbb7b, v154
	v_fma_f16 v168, v182, 0x388b, -v172
	v_fma_f16 v181, v186, 0xb5ac, -v143
	ds_write2_b32 v116, v156, v119 offset0:16 offset1:20
	v_add_f16_e32 v119, v165, v176
	v_pack_b32_f16 v191, v121, v167
	v_mul_f16_e32 v156, 0x394e, v179
	v_mul_f16_e32 v165, 0x3770, v179
	;; [unrolled: 1-line block ×3, first 2 shown]
	v_add_f16_e32 v162, v162, v180
	v_fmamk_f16 v180, v145, 0xb5ac, v141
	v_add_f16_e32 v176, v168, v177
	v_add_f16_e32 v177, v181, v149
	v_mul_f16_e32 v168, 0xbbf1, v179
	v_pack_b32_f16 v192, v122, v175
	v_fma_f16 v121, v186, 0xb9fd, -v156
	v_fma_f16 v122, v186, 0x3b15, -v165
	v_fmamk_f16 v149, v145, 0x2fb7, v167
	v_mul_f16_e32 v175, 0x33a8, v154
	v_add_f16_e32 v123, v180, v123
	v_fma_f16 v180, v186, 0x2fb7, -v168
	v_add_f16_e32 v121, v121, v146
	v_add_f16_e32 v122, v122, v178
	;; [unrolled: 1-line block ×3, first 2 shown]
	v_fmamk_f16 v149, v145, 0xbbc4, v175
	v_mul_f16_e32 v178, 0x33a8, v179
	v_mul_f16_e32 v146, 0xb94e, v159
	v_sub_f16_e32 v184, v27, v19
	v_add_f16_e32 v180, v180, v162
	v_pack_b32_f16 v193, v174, v118
	v_pack_b32_f16 v194, v170, v171
	v_add_f16_e32 v118, v149, v119
	v_fma_f16 v119, v186, 0xbbc4, -v178
	v_pack_b32_f16 v195, v117, v161
	v_fmamk_f16 v117, v148, 0xb9fd, v146
	v_add_f16_e32 v189, v54, v57
	v_mul_f16_e32 v149, 0xb94e, v184
	v_mul_f16_e32 v162, 0x3bf1, v184
	;; [unrolled: 1-line block ×4, first 2 shown]
	v_pack_b32_f16 v196, v153, v155
	v_add_f16_e32 v119, v119, v176
	v_add_f16_e32 v117, v117, v123
	v_fma_f16 v123, v189, 0xb9fd, -v149
	v_mul_f16_e32 v176, 0x33a8, v184
	v_fma_f16 v153, v189, 0x2fb7, -v162
	v_fma_f16 v155, v189, 0x388b, -v170
	v_fmamk_f16 v161, v148, 0xbbc4, v171
	v_mul_f16_e32 v181, 0x3770, v159
	v_sub_f16_e32 v188, v26, v25
	v_add_f16_e32 v123, v123, v177
	v_fma_f16 v174, v189, 0xbbc4, -v176
	v_add_f16_e32 v177, v153, v121
	v_add_f16_e32 v122, v155, v122
	;; [unrolled: 1-line block ×3, first 2 shown]
	v_fmamk_f16 v120, v148, 0x3b15, v181
	v_mul_f16_e32 v185, 0x3770, v184
	v_mul_f16_e32 v153, 0xb3a8, v163
	v_add_f16_e32 v190, v55, v56
	v_mul_f16_e32 v155, 0xb3a8, v188
	v_mul_f16_e32 v161, 0x3770, v188
	v_add_f16_e32 v198, v174, v180
	v_fma_f16 v121, v189, 0x3b15, -v185
	v_fmamk_f16 v174, v152, 0xbbc4, v153
	v_add_f16_e32 v199, v120, v118
	v_fma_f16 v118, v190, 0xbbc4, -v155
	v_fma_f16 v180, v190, 0x3b15, -v161
	v_add_f16_e32 v200, v121, v119
	v_add_f16_e32 v120, v174, v117
	v_mul_f16_e32 v174, 0xb94e, v188
	v_add_f16_e32 v121, v118, v123
	v_add_f16_e32 v118, v180, v177
	v_mul_f16_e32 v180, 0x3a95, v188
	v_mul_f16_e32 v183, 0xbb7b, v163
	;; [unrolled: 1-line block ×4, first 2 shown]
	v_fma_f16 v117, v190, 0xb9fd, -v174
	v_fma_f16 v123, v190, 0x388b, -v180
	v_fmamk_f16 v201, v152, 0xb5ac, v183
	v_fma_f16 v202, v190, 0xb5ac, -v187
	v_fmamk_f16 v203, v152, 0x388b, v177
	v_add_f16_e32 v119, v117, v122
	v_add_f16_e32 v117, v123, v198
	;; [unrolled: 1-line block ×3, first 2 shown]
	v_pack_b32_f16 v198, v46, v114
	v_add_f16_e32 v123, v202, v200
	v_add_f16_e32 v46, v203, v197
	v_lshrrev_b32_e32 v114, 2, v40
	ds_write2_b32 v116, v191, v192 offset0:24 offset1:28
	ds_write2_b32 v116, v193, v194 offset0:32 offset1:36
	;; [unrolled: 1-line block ×3, first 2 shown]
	ds_write_b32 v116, v198 offset:192
	s_and_saveexec_b32 s1, s0
	s_cbranch_execz .LBB0_15
; %bb.14:
	v_mul_f16_e32 v192, 0x388b, v126
	v_mul_f16_e32 v202, 0xb5ac, v132
	;; [unrolled: 1-line block ×5, first 2 shown]
	v_sub_f16_e32 v34, v192, v34
	v_sub_f16_e32 v37, v202, v37
	v_add_f16_e32 v13, v12, v13
	v_add_f16_e32 v60, v41, v60
	v_fmamk_f16 v252, v126, 0xbbc4, v138
	v_add_f16_e32 v34, v12, v34
	v_mul_f16_e32 v144, 0x3770, v144
	v_add_f16_e32 v13, v13, v32
	v_mul_f16_e32 v191, 0x3b15, v142
	v_mul_f16_e32 v193, 0x388b, v142
	v_add_f16_e32 v34, v37, v34
	v_sub_f16_e32 v37, v212, v63
	v_mul_f16_e32 v195, 0x2fb7, v142
	v_mul_f16_e32 v197, 0xb5ac, v142
	;; [unrolled: 1-line block ×4, first 2 shown]
	v_add_f16_e32 v34, v37, v34
	v_sub_f16_e32 v37, v222, v65
	v_add_f16_e32 v252, v12, v252
	v_fmamk_f16 v253, v132, 0x3b15, v144
	v_mul_f16_e32 v151, 0xb94e, v151
	v_add_f16_e32 v13, v13, v31
	v_add_f16_e32 v32, v37, v34
	;; [unrolled: 1-line block ×3, first 2 shown]
	v_mul_f16_e32 v40, 0x3b15, v126
	v_mul_f16_e32 v194, 0x2fb7, v126
	;; [unrolled: 1-line block ×4, first 2 shown]
	v_add_f16_e32 v34, v34, v52
	v_mul_f16_e32 v201, 0x388b, v147
	v_mul_f16_e32 v203, 0xb5ac, v147
	;; [unrolled: 1-line block ×5, first 2 shown]
	v_fmamk_f16 v244, v131, 0x33a8, v142
	v_mul_f16_e32 v147, 0x3b15, v147
	v_fmac_f16_e32 v142, 0xb3a8, v131
	v_add_f16_e32 v131, v253, v252
	v_fmamk_f16 v252, v140, 0xb9fd, v151
	v_mul_f16_e32 v154, 0x3a95, v154
	v_add_f16_e32 v13, v13, v28
	v_add_f16_e32 v34, v34, v53
	v_mul_f16_e32 v200, 0x388b, v132
	v_fmamk_f16 v248, v139, 0xb770, v147
	v_add_f16_e32 v142, v41, v142
	v_fmac_f16_e32 v147, 0x3770, v139
	v_add_f16_e32 v131, v252, v131
	v_fmamk_f16 v139, v145, 0x388b, v154
	v_mul_f16_e32 v159, 0xbb7b, v159
	v_fma_f16 v126, v126, 0xbbc4, -v138
	v_sub_f16_e32 v129, v198, v129
	v_sub_f16_e32 v62, v196, v62
	;; [unrolled: 1-line block ×4, first 2 shown]
	v_add_f16_e32 v13, v13, v27
	v_add_f16_e32 v27, v33, v201
	;; [unrolled: 1-line block ×3, first 2 shown]
	v_mul_f16_e32 v204, 0xbbc4, v132
	v_mul_f16_e32 v206, 0xb9fd, v132
	;; [unrolled: 1-line block ×4, first 2 shown]
	v_add_f16_e32 v142, v147, v142
	v_add_f16_e32 v131, v139, v131
	v_fmamk_f16 v139, v148, 0xb5ac, v159
	v_mul_f16_e32 v147, 0x3bf1, v163
	v_add_f16_e32 v126, v12, v126
	v_fma_f16 v132, v132, 0x3b15, -v144
	v_add_f16_e32 v129, v12, v129
	v_add_f16_e32 v38, v38, v195
	;; [unrolled: 1-line block ×7, first 2 shown]
	v_sub_f16_e32 v14, v200, v24
	v_add_f16_e32 v13, v13, v26
	v_add_f16_e32 v24, v33, v55
	v_mul_f16_e32 v211, 0x2fb7, v182
	v_mul_f16_e32 v213, 0xbbc4, v182
	;; [unrolled: 1-line block ×4, first 2 shown]
	v_add_f16_e32 v131, v139, v131
	v_fmamk_f16 v139, v152, 0x2fb7, v147
	v_add_f16_e32 v136, v136, v199
	v_add_f16_e32 v126, v132, v126
	v_fma_f16 v132, v140, 0xb9fd, -v151
	v_add_f16_e32 v67, v67, v197
	v_add_f16_e32 v38, v41, v38
	v_add_f16_e32 v115, v115, v205
	v_sub_f16_e32 v64, v204, v64
	v_add_f16_e32 v35, v41, v35
	v_add_f16_e32 v61, v61, v203
	;; [unrolled: 1-line block ×5, first 2 shown]
	v_sub_f16_e32 v14, v210, v135
	v_add_f16_e32 v24, v24, v56
	v_mul_f16_e32 v216, 0x3b15, v140
	v_mul_f16_e32 v217, 0x3b15, v182
	v_mul_f16_e32 v218, 0x388b, v140
	v_mul_f16_e32 v219, 0x388b, v182
	v_mul_f16_e32 v220, 0xb5ac, v145
	v_mul_f16_e32 v221, 0xb5ac, v186
	v_mul_f16_e32 v223, 0xb9fd, v186
	v_mul_f16_e32 v224, 0x3b15, v145
	v_mul_f16_e32 v225, 0x3b15, v186
	v_add_f16_e32 v131, v139, v131
	v_add_f16_e32 v136, v41, v136
	;; [unrolled: 1-line block ×4, first 2 shown]
	v_fma_f16 v132, v145, 0x388b, -v154
	v_sub_f16_e32 v140, v208, v157
	v_add_f16_e32 v67, v41, v67
	v_add_f16_e32 v134, v134, v207
	v_sub_f16_e32 v125, v206, v125
	v_add_f16_e32 v38, v115, v38
	v_add_f16_e32 v115, v158, v215
	;; [unrolled: 1-line block ×3, first 2 shown]
	v_sub_f16_e32 v64, v214, v124
	v_add_f16_e32 v35, v61, v35
	v_add_f16_e32 v61, v150, v213
	;; [unrolled: 1-line block ×8, first 2 shown]
	v_mul_f16_e32 v182, 0xb9fd, v182
	v_mul_f16_e32 v226, 0x2fb7, v145
	;; [unrolled: 1-line block ×11, first 2 shown]
	v_add_f16_e32 v136, v139, v136
	v_add_f16_e32 v139, v172, v219
	;; [unrolled: 1-line block ×3, first 2 shown]
	v_fma_f16 v132, v148, 0xb5ac, -v159
	v_add_f16_e32 v129, v140, v129
	v_sub_f16_e32 v140, v218, v169
	v_add_f16_e32 v67, v134, v67
	v_add_f16_e32 v134, v164, v217
	v_add_f16_e32 v62, v125, v62
	v_sub_f16_e32 v125, v216, v160
	v_add_f16_e32 v38, v115, v38
	v_add_f16_e32 v115, v165, v225
	;; [unrolled: 4-line block ×3, first 2 shown]
	v_add_f16_e32 v23, v26, v23
	v_add_f16_e32 v25, v143, v221
	v_sub_f16_e32 v19, v220, v141
	v_add_f16_e32 v13, v13, v18
	v_add_f16_e32 v14, v14, v58
	;; [unrolled: 1-line block ×3, first 2 shown]
	v_fmamk_f16 v248, v173, 0x394e, v182
	v_mul_f16_e32 v186, 0x388b, v186
	v_fmac_f16_e32 v182, 0xb94e, v173
	v_mul_f16_e32 v236, 0xbbc4, v148
	v_mul_f16_e32 v237, 0xbbc4, v189
	;; [unrolled: 1-line block ×10, first 2 shown]
	v_add_f16_e32 v136, v139, v136
	v_add_f16_e32 v139, v178, v229
	;; [unrolled: 1-line block ×4, first 2 shown]
	v_sub_f16_e32 v132, v228, v175
	v_add_f16_e32 v67, v134, v67
	v_add_f16_e32 v134, v168, v227
	;; [unrolled: 1-line block ×3, first 2 shown]
	v_sub_f16_e32 v125, v226, v167
	v_add_f16_e32 v38, v115, v38
	v_add_f16_e32 v115, v170, v235
	;; [unrolled: 1-line block ×3, first 2 shown]
	v_sub_f16_e32 v64, v234, v133
	v_add_f16_e32 v35, v61, v35
	v_add_f16_e32 v61, v162, v233
	v_sub_f16_e32 v37, v232, v66
	v_add_f16_e32 v23, v25, v23
	v_add_f16_e32 v18, v149, v231
	;; [unrolled: 1-line block ×3, first 2 shown]
	v_sub_f16_e32 v19, v230, v146
	v_add_f16_e32 v13, v13, v17
	v_add_f16_e32 v14, v14, v59
	;; [unrolled: 1-line block ×3, first 2 shown]
	v_fmamk_f16 v248, v179, 0xba95, v186
	v_mul_f16_e32 v189, 0xb5ac, v189
	v_add_f16_e32 v142, v182, v142
	v_fmac_f16_e32 v186, 0x3a95, v179
	v_mul_f16_e32 v247, 0x388b, v152
	v_mul_f16_e32 v249, 0x388b, v190
	;; [unrolled: 1-line block ×4, first 2 shown]
	v_add_f16_e32 v136, v139, v136
	v_add_f16_e32 v139, v185, v239
	v_add_f16_e32 v129, v132, v129
	v_sub_f16_e32 v132, v238, v181
	v_add_f16_e32 v67, v134, v67
	v_add_f16_e32 v134, v176, v237
	;; [unrolled: 1-line block ×3, first 2 shown]
	v_sub_f16_e32 v125, v236, v171
	v_add_f16_e32 v38, v115, v38
	v_add_f16_e32 v115, v174, v246
	;; [unrolled: 1-line block ×5, first 2 shown]
	v_sub_f16_e32 v51, v245, v130
	v_add_f16_e32 v32, v37, v32
	v_sub_f16_e32 v28, v242, v127
	v_add_f16_e32 v17, v18, v23
	v_add_f16_e32 v18, v155, v241
	v_add_f16_e32 v12, v19, v12
	v_add_f16_e32 v13, v13, v16
	v_mul_u32_u24_e32 v16, 52, v114
	v_add_f16_e32 v14, v14, v42
	v_sub_f16_e32 v19, v240, v153
	v_add_f16_e32 v244, v248, v244
	v_fmamk_f16 v248, v184, 0x3b7b, v189
	v_mul_f16_e32 v190, 0x2fb7, v190
	v_add_f16_e32 v138, v186, v142
	v_fmac_f16_e32 v189, 0xbb7b, v184
	v_add_f16_e32 v136, v139, v136
	v_add_f16_e32 v139, v187, v251
	;; [unrolled: 1-line block ×3, first 2 shown]
	v_sub_f16_e32 v132, v250, v183
	v_add_f16_e32 v67, v134, v67
	v_add_f16_e32 v134, v180, v249
	;; [unrolled: 1-line block ×3, first 2 shown]
	v_sub_f16_e32 v125, v247, v177
	v_add_f16_e32 v38, v115, v38
	v_add_f16_e32 v31, v61, v35
	;; [unrolled: 1-line block ×4, first 2 shown]
	v_or_b32_e32 v15, v16, v90
	v_add_f16_e32 v14, v14, v49
	v_add_f16_e32 v12, v19, v12
	;; [unrolled: 1-line block ×5, first 2 shown]
	v_fmamk_f16 v163, v188, 0xbbf1, v190
	v_add_f16_e32 v138, v189, v138
	v_fmac_f16_e32 v190, 0x3bf1, v188
	v_fma_f16 v140, v152, 0x2fb7, -v147
	v_add_f16_e32 v136, v139, v136
	v_add_f16_e32 v67, v134, v67
	v_lshlrev_b32_e32 v15, 2, v15
	v_pack_b32_f16 v13, v13, v14
	v_pack_b32_f16 v12, v12, v17
	;; [unrolled: 1-line block ×4, first 2 shown]
	v_add_f16_e32 v17, v125, v62
	v_add_f16_e32 v18, v132, v129
	;; [unrolled: 1-line block ×5, first 2 shown]
	ds_write2_b32 v15, v13, v12 offset1:4
	ds_write2_b32 v15, v14, v16 offset0:8 offset1:12
	v_pack_b32_f16 v12, v17, v67
	v_pack_b32_f16 v13, v18, v136
	;; [unrolled: 1-line block ×4, first 2 shown]
	v_perm_b32 v17, v123, v122, 0x5040100
	v_perm_b32 v18, v117, v46, 0x5040100
	;; [unrolled: 1-line block ×5, first 2 shown]
	ds_write2_b32 v15, v12, v13 offset0:16 offset1:20
	ds_write2_b32 v15, v14, v16 offset0:24 offset1:28
	;; [unrolled: 1-line block ×4, first 2 shown]
	ds_write_b32 v15, v24 offset:192
.LBB0_15:
	s_or_b32 exec_lo, exec_lo, s1
	v_mad_u64_u32 v[16:17], null, v86, 24, s[2:3]
	s_waitcnt lgkmcnt(0)
	s_barrier
	buffer_gl0_inv
	v_add_nc_u32_e32 v60, 0x400, v68
	v_add_nc_u32_e32 v52, 0x800, v68
	;; [unrolled: 1-line block ×3, first 2 shown]
	s_clause 0x1
	global_load_dwordx4 v[12:15], v[16:17], off offset:200
	global_load_dwordx2 v[25:26], v[16:17], off offset:216
	v_and_b32_e32 v16, 0xff, v39
	v_add_nc_u32_e32 v61, 0xc00, v68
	v_add_nc_u32_e32 v53, 0x200, v68
	v_lshlrev_b32_e32 v63, 2, v44
	v_mul_lo_u16 v16, 0x4f, v16
	v_lshrrev_b16 v16, 12, v16
	v_mul_lo_u16 v16, v16, 52
	v_sub_nc_u16 v16, v39, v16
	v_and_b32_e32 v62, 0xff, v16
	v_mad_u64_u32 v[23:24], null, v62, 24, s[2:3]
	v_lshlrev_b32_e32 v115, 2, v62
	s_clause 0x1
	global_load_dwordx4 v[16:19], v[23:24], off offset:200
	global_load_dwordx2 v[27:28], v[23:24], off offset:216
	ds_read2_b32 v[23:24], v68 offset0:104 offset1:156
	ds_read_b32 v49, v68 offset:4160
	ds_read2_b32 v[54:55], v60 offset0:56 offset1:108
	ds_read2_b32 v[33:34], v60 offset0:160 offset1:212
	;; [unrolled: 1-line block ×8, first 2 shown]
	ds_read2_b32 v[41:42], v68 offset1:52
	s_waitcnt vmcnt(0) lgkmcnt(0)
	s_barrier
	buffer_gl0_inv
	v_add_nc_u32_e32 v136, 0xa00, v115
	v_add_nc_u32_e32 v137, 0xc00, v115
	v_lshrrev_b32_e32 v64, 16, v49
	v_lshrrev_b32_e32 v65, 16, v54
	;; [unrolled: 1-line block ×18, first 2 shown]
	v_mul_f16_sdwa v138, v44, v12 dst_sel:DWORD dst_unused:UNUSED_PAD src0_sel:DWORD src1_sel:WORD_1
	v_mul_f16_sdwa v139, v24, v12 dst_sel:DWORD dst_unused:UNUSED_PAD src0_sel:DWORD src1_sel:WORD_1
	;; [unrolled: 1-line block ×24, first 2 shown]
	v_fma_f16 v24, v24, v12, -v138
	v_fmac_f16_e32 v139, v44, v12
	v_fma_f16 v44, v54, v13, -v140
	v_fmac_f16_e32 v141, v65, v13
	;; [unrolled: 2-line block ×12, first 2 shown]
	v_add_f16_e32 v59, v24, v56
	v_add_f16_e32 v65, v139, v149
	v_sub_f16_e32 v24, v24, v56
	v_sub_f16_e32 v56, v139, v149
	v_add_f16_e32 v66, v44, v32
	v_add_f16_e32 v67, v141, v147
	v_sub_f16_e32 v32, v44, v32
	v_sub_f16_e32 v44, v141, v147
	;; [unrolled: 4-line block ×3, first 2 shown]
	v_add_f16_e32 v126, v39, v58
	v_add_f16_e32 v127, v151, v161
	;; [unrolled: 1-line block ×4, first 2 shown]
	v_sub_f16_e32 v39, v39, v58
	v_sub_f16_e32 v58, v151, v161
	;; [unrolled: 1-line block ×4, first 2 shown]
	v_add_f16_e32 v130, v37, v57
	v_add_f16_e32 v131, v155, v157
	v_sub_f16_e32 v37, v57, v37
	v_sub_f16_e32 v57, v157, v155
	v_add_f16_e32 v138, v66, v59
	v_add_f16_e32 v139, v67, v65
	v_sub_f16_e32 v140, v66, v59
	v_sub_f16_e32 v141, v67, v65
	;; [unrolled: 1-line block ×6, first 2 shown]
	v_add_f16_e32 v142, v34, v32
	v_add_f16_e32 v143, v54, v44
	v_sub_f16_e32 v144, v34, v32
	v_sub_f16_e32 v145, v54, v44
	;; [unrolled: 1-line block ×4, first 2 shown]
	v_add_f16_e32 v146, v128, v126
	v_add_f16_e32 v147, v129, v127
	v_sub_f16_e32 v34, v24, v34
	v_sub_f16_e32 v54, v56, v54
	;; [unrolled: 1-line block ×8, first 2 shown]
	v_add_f16_e32 v150, v37, v35
	v_add_f16_e32 v151, v57, v55
	v_sub_f16_e32 v152, v37, v35
	v_sub_f16_e32 v153, v57, v55
	;; [unrolled: 1-line block ×4, first 2 shown]
	v_add_f16_e32 v124, v124, v138
	v_add_f16_e32 v125, v125, v139
	;; [unrolled: 1-line block ×4, first 2 shown]
	v_mul_f16_e32 v59, 0x3a52, v59
	v_mul_f16_e32 v65, 0x3a52, v65
	v_mul_f16_e32 v138, 0x2b26, v66
	v_mul_f16_e32 v139, 0x2b26, v67
	v_mul_f16_e32 v142, 0xb846, v144
	v_mul_f16_e32 v143, 0xb846, v145
	v_mul_f16_e32 v144, 0x3b00, v32
	v_mul_f16_e32 v145, 0x3b00, v44
	v_add_f16_e32 v130, v130, v146
	v_add_f16_e32 v131, v131, v147
	v_sub_f16_e32 v37, v39, v37
	v_sub_f16_e32 v57, v58, v57
	v_add_f16_e32 v39, v150, v39
	v_add_f16_e32 v58, v151, v58
	v_mul_f16_e32 v126, 0x3a52, v126
	v_mul_f16_e32 v127, 0x3a52, v127
	v_mul_f16_e32 v146, 0x2b26, v128
	v_mul_f16_e32 v147, 0x2b26, v129
	v_mul_f16_e32 v150, 0xb846, v152
	v_mul_f16_e32 v151, 0xb846, v153
	v_mul_f16_e32 v152, 0x3b00, v35
	v_mul_f16_e32 v153, 0x3b00, v55
	v_add_f16_e32 v154, v41, v124
	v_add_f16_sdwa v41, v41, v125 dst_sel:DWORD dst_unused:UNUSED_PAD src0_sel:WORD_1 src1_sel:DWORD
	v_fmamk_f16 v66, v66, 0x2b26, v59
	v_fmamk_f16 v67, v67, 0x2b26, v65
	v_fma_f16 v138, v140, 0x39e0, -v138
	v_fma_f16 v139, v141, 0x39e0, -v139
	;; [unrolled: 1-line block ×4, first 2 shown]
	v_fmamk_f16 v140, v34, 0x3574, v142
	v_fmamk_f16 v141, v54, 0x3574, v143
	v_fma_f16 v32, v32, 0x3b00, -v142
	v_fma_f16 v44, v44, 0x3b00, -v143
	;; [unrolled: 1-line block ×4, first 2 shown]
	v_add_f16_e32 v142, v42, v130
	v_add_f16_sdwa v42, v42, v131 dst_sel:DWORD dst_unused:UNUSED_PAD src0_sel:WORD_1 src1_sel:DWORD
	v_fmamk_f16 v128, v128, 0x2b26, v126
	v_fmamk_f16 v129, v129, 0x2b26, v127
	v_fma_f16 v143, v148, 0x39e0, -v146
	v_fma_f16 v144, v149, 0x39e0, -v147
	;; [unrolled: 1-line block ×4, first 2 shown]
	v_fmamk_f16 v145, v37, 0x3574, v150
	v_fmamk_f16 v146, v57, 0x3574, v151
	v_fma_f16 v35, v35, 0x3b00, -v150
	v_fma_f16 v55, v55, 0x3b00, -v151
	v_fma_f16 v37, v37, 0xb574, -v152
	v_fma_f16 v57, v57, 0xb574, -v153
	v_mul_f16_sdwa v147, v132, v16 dst_sel:DWORD dst_unused:UNUSED_PAD src0_sel:DWORD src1_sel:WORD_1
	v_mul_f16_sdwa v148, v40, v16 dst_sel:DWORD dst_unused:UNUSED_PAD src0_sel:DWORD src1_sel:WORD_1
	;; [unrolled: 1-line block ×8, first 2 shown]
	v_fmamk_f16 v124, v124, 0xbcab, v154
	v_fmamk_f16 v125, v125, 0xbcab, v41
	v_fmac_f16_e32 v140, 0x370e, v24
	v_fmac_f16_e32 v141, 0x370e, v56
	;; [unrolled: 1-line block ×6, first 2 shown]
	v_fmamk_f16 v24, v130, 0xbcab, v142
	v_fmamk_f16 v56, v131, 0xbcab, v42
	v_mul_f16_sdwa v151, v133, v18 dst_sel:DWORD dst_unused:UNUSED_PAD src0_sel:DWORD src1_sel:WORD_1
	v_mul_f16_sdwa v152, v38, v18 dst_sel:DWORD dst_unused:UNUSED_PAD src0_sel:DWORD src1_sel:WORD_1
	;; [unrolled: 1-line block ×4, first 2 shown]
	v_fmac_f16_e32 v145, 0x370e, v39
	v_fmac_f16_e32 v146, 0x370e, v58
	;; [unrolled: 1-line block ×6, first 2 shown]
	v_pack_b32_f16 v39, v154, v41
	v_pack_b32_f16 v41, v142, v42
	v_fma_f16 v40, v40, v16, -v147
	v_fmac_f16_e32 v148, v132, v16
	v_fma_f16 v33, v33, v17, -v149
	v_fmac_f16_e32 v150, v62, v17
	;; [unrolled: 2-line block ×4, first 2 shown]
	v_add_f16_e32 v49, v66, v124
	v_add_f16_e32 v58, v67, v125
	;; [unrolled: 1-line block ×12, first 2 shown]
	v_fma_f16 v38, v38, v18, -v151
	v_fmac_f16_e32 v152, v133, v18
	v_fma_f16 v31, v31, v19, -v153
	v_fmac_f16_e32 v155, v134, v19
	v_add_f16_e32 v128, v54, v59
	v_sub_f16_e32 v129, v65, v34
	v_sub_f16_e32 v130, v62, v44
	v_add_f16_e32 v131, v32, v64
	v_add_f16_e32 v44, v44, v62
	v_sub_f16_e32 v32, v64, v32
	v_sub_f16_e32 v54, v59, v54
	v_add_f16_e32 v34, v34, v65
	v_add_f16_e32 v59, v146, v66
	v_sub_f16_e32 v62, v67, v145
	v_add_f16_e32 v64, v57, v24
	v_sub_f16_e32 v65, v56, v37
	v_sub_f16_e32 v132, v124, v55
	v_add_f16_e32 v133, v35, v125
	v_add_f16_e32 v55, v55, v124
	v_sub_f16_e32 v35, v125, v35
	v_sub_f16_e32 v24, v24, v57
	v_add_f16_e32 v37, v37, v56
	v_sub_f16_e32 v56, v66, v146
	v_add_f16_e32 v57, v145, v67
	v_add_f16_e32 v66, v40, v42
	;; [unrolled: 1-line block ×6, first 2 shown]
	v_sub_f16_e32 v127, v58, v140
	v_sub_f16_e32 v33, v33, v36
	;; [unrolled: 1-line block ×3, first 2 shown]
	v_add_f16_e32 v134, v38, v31
	v_add_f16_e32 v135, v152, v155
	v_sub_f16_e32 v31, v31, v38
	v_sub_f16_e32 v38, v155, v152
	v_add_f16_e32 v138, v124, v66
	v_add_f16_e32 v139, v125, v67
	v_sub_f16_e32 v40, v40, v42
	v_sub_f16_e32 v42, v148, v159
	;; [unrolled: 1-line block ×3, first 2 shown]
	v_add_f16_e32 v58, v140, v58
	v_sub_f16_e32 v140, v124, v66
	v_sub_f16_e32 v141, v125, v67
	;; [unrolled: 1-line block ×6, first 2 shown]
	v_pack_b32_f16 v126, v126, v127
	v_pack_b32_f16 v35, v55, v35
	;; [unrolled: 1-line block ×4, first 2 shown]
	v_add_f16_e32 v55, v134, v138
	v_add_f16_e32 v56, v135, v139
	v_sub_f16_e32 v124, v134, v124
	v_sub_f16_e32 v125, v135, v125
	v_add_f16_e32 v142, v31, v33
	v_add_f16_e32 v143, v38, v36
	v_sub_f16_e32 v33, v33, v40
	v_sub_f16_e32 v36, v36, v42
	v_pack_b32_f16 v127, v128, v129
	v_pack_b32_f16 v128, v130, v131
	;; [unrolled: 1-line block ×7, first 2 shown]
	v_sub_f16_e32 v31, v40, v31
	v_sub_f16_e32 v38, v42, v38
	v_pack_b32_f16 v58, v132, v133
	v_mul_f16_e32 v57, 0x3a52, v66
	v_mul_f16_e32 v59, 0x3a52, v67
	;; [unrolled: 1-line block ×4, first 2 shown]
	ds_write2_b32 v68, v39, v126 offset1:52
	ds_write2_b32 v68, v127, v128 offset0:104 offset1:156
	ds_write2_b32 v53, v32, v34 offset0:80 offset1:132
	;; [unrolled: 1-line block ×5, first 2 shown]
	v_add_f16_e32 v32, v23, v55
	v_add_f16_sdwa v23, v23, v56 dst_sel:DWORD dst_unused:UNUSED_PAD src0_sel:WORD_1 src1_sel:DWORD
	v_mul_f16_e32 v62, 0x2b26, v124
	v_mul_f16_e32 v64, 0x2b26, v125
	;; [unrolled: 1-line block ×4, first 2 shown]
	v_add_f16_e32 v40, v142, v40
	v_add_f16_e32 v42, v143, v42
	v_fmamk_f16 v34, v124, 0x2b26, v57
	v_fmamk_f16 v35, v125, 0x2b26, v59
	v_fma_f16 v44, v140, 0xb9e0, -v57
	v_fmamk_f16 v54, v31, 0x3574, v65
	v_fmamk_f16 v57, v38, 0x3574, v66
	v_fmamk_f16 v55, v55, 0xbcab, v32
	v_fmamk_f16 v56, v56, 0xbcab, v23
	v_fma_f16 v39, v140, 0x39e0, -v62
	v_fma_f16 v41, v141, 0x39e0, -v64
	;; [unrolled: 1-line block ×7, first 2 shown]
	v_fmac_f16_e32 v54, 0x370e, v40
	v_fmac_f16_e32 v57, 0x370e, v42
	v_pack_b32_f16 v23, v32, v23
	v_add_f16_e32 v32, v34, v55
	v_add_f16_e32 v34, v35, v56
	v_fmac_f16_e32 v33, 0x370e, v40
	v_fmac_f16_e32 v36, 0x370e, v42
	;; [unrolled: 1-line block ×4, first 2 shown]
	v_add_f16_e32 v35, v39, v55
	v_add_f16_e32 v39, v44, v55
	;; [unrolled: 1-line block ×5, first 2 shown]
	v_sub_f16_e32 v44, v34, v54
	v_add_f16_e32 v49, v38, v39
	v_sub_f16_e32 v55, v40, v31
	v_sub_f16_e32 v56, v35, v36
	v_add_f16_e32 v58, v33, v41
	v_add_f16_e32 v35, v36, v35
	v_sub_f16_e32 v33, v41, v33
	v_sub_f16_e32 v36, v39, v38
	v_add_f16_e32 v31, v31, v40
	v_sub_f16_e32 v32, v32, v57
	v_add_f16_e32 v34, v54, v34
	v_pack_b32_f16 v38, v42, v44
	v_pack_b32_f16 v39, v49, v55
	;; [unrolled: 1-line block ×6, first 2 shown]
	ds_write2_b32 v52, v24, v37 offset0:112 offset1:164
	ds_write2_b32 v136, v23, v38 offset0:88 offset1:140
	ds_write2_b32 v137, v39, v40 offset0:64 offset1:116
	ds_write2_b32 v137, v33, v31 offset0:168 offset1:220
	ds_write_b32 v115, v32 offset:4160
	s_waitcnt lgkmcnt(0)
	s_barrier
	buffer_gl0_inv
	s_clause 0x1
	global_load_dwordx2 v[43:44], v43, s[2:3] offset:1448
	global_load_dwordx2 v[41:42], v63, s[2:3] offset:1448
	v_lshlrev_b32_e32 v23, 2, v47
	v_lshlrev_b32_e32 v124, 2, v48
	s_clause 0x4
	global_load_dwordx2 v[39:40], v23, s[2:3] offset:1448
	global_load_dwordx2 v[37:38], v124, s[2:3] offset:1448
	;; [unrolled: 1-line block ×5, first 2 shown]
	ds_read2_b32 v[54:55], v68 offset1:52
	ds_read2_b32 v[47:48], v60 offset0:56 offset1:108
	ds_read2_b32 v[56:57], v51 offset0:88 offset1:140
	;; [unrolled: 1-line block ×9, first 2 shown]
	ds_read_b32 v49, v68 offset:4160
	v_add_co_u32 v23, s1, 0x1000, v45
	v_add_co_ci_u32_e64 v24, s1, 0, v50, s1
	s_waitcnt lgkmcnt(10)
	v_lshrrev_b32_e32 v132, 16, v54
	s_waitcnt lgkmcnt(9)
	v_lshrrev_b32_e32 v133, 16, v48
	;; [unrolled: 2-line block ×4, first 2 shown]
	v_lshrrev_b32_e32 v137, 16, v57
	v_lshrrev_b32_e32 v139, 16, v59
	s_waitcnt lgkmcnt(5)
	v_lshrrev_b32_e32 v140, 16, v64
	s_waitcnt lgkmcnt(4)
	v_lshrrev_b32_e32 v142, 16, v66
	v_lshrrev_b32_e32 v143, 16, v65
	;; [unrolled: 1-line block ×3, first 2 shown]
	s_waitcnt lgkmcnt(2)
	v_lshrrev_b32_e32 v146, 16, v128
	s_waitcnt lgkmcnt(1)
	v_lshrrev_b32_e32 v148, 16, v130
	v_lshrrev_b32_e32 v149, 16, v129
	;; [unrolled: 1-line block ×3, first 2 shown]
	s_waitcnt lgkmcnt(0)
	v_lshrrev_b32_e32 v151, 16, v49
	v_lshrrev_b32_e32 v135, 16, v55
	;; [unrolled: 1-line block ×7, first 2 shown]
	s_waitcnt vmcnt(6)
	v_mul_f16_sdwa v152, v133, v43 dst_sel:DWORD dst_unused:UNUSED_PAD src0_sel:DWORD src1_sel:WORD_1
	v_mul_f16_sdwa v153, v48, v43 dst_sel:DWORD dst_unused:UNUSED_PAD src0_sel:DWORD src1_sel:WORD_1
	v_mul_f16_sdwa v154, v134, v44 dst_sel:DWORD dst_unused:UNUSED_PAD src0_sel:DWORD src1_sel:WORD_1
	v_mul_f16_sdwa v155, v56, v44 dst_sel:DWORD dst_unused:UNUSED_PAD src0_sel:DWORD src1_sel:WORD_1
	s_waitcnt vmcnt(5)
	v_mul_f16_sdwa v156, v136, v41 dst_sel:DWORD dst_unused:UNUSED_PAD src0_sel:DWORD src1_sel:WORD_1
	v_mul_f16_sdwa v157, v58, v41 dst_sel:DWORD dst_unused:UNUSED_PAD src0_sel:DWORD src1_sel:WORD_1
	v_mul_f16_sdwa v158, v137, v42 dst_sel:DWORD dst_unused:UNUSED_PAD src0_sel:DWORD src1_sel:WORD_1
	v_mul_f16_sdwa v159, v57, v42 dst_sel:DWORD dst_unused:UNUSED_PAD src0_sel:DWORD src1_sel:WORD_1
	;; [unrolled: 5-line block ×7, first 2 shown]
	v_fma_f16 v48, v48, v43, -v152
	v_fmac_f16_e32 v153, v133, v43
	v_fma_f16 v56, v56, v44, -v154
	v_fmac_f16_e32 v155, v134, v44
	;; [unrolled: 2-line block ×14, first 2 shown]
	v_add_f16_e32 v134, v48, v56
	v_add_f16_e32 v139, v153, v155
	;; [unrolled: 1-line block ×7, first 2 shown]
	v_sub_f16_e32 v136, v153, v155
	v_add_f16_e32 v137, v132, v153
	v_sub_f16_e32 v48, v48, v56
	v_sub_f16_e32 v143, v157, v159
	v_add_f16_e32 v145, v135, v157
	v_sub_f16_e32 v150, v161, v163
	v_add_f16_e32 v151, v138, v161
	v_add_f16_e32 v154, v66, v65
	v_sub_f16_e32 v156, v165, v167
	v_add_f16_e32 v157, v141, v165
	v_add_f16_e32 v158, v165, v167
	;; [unrolled: 1-line block ×7, first 2 shown]
	v_sub_f16_e32 v176, v177, v179
	v_add_f16_e32 v178, v125, v177
	v_add_f16_e32 v177, v177, v179
	v_fma_f16 v54, -0.5, v134, v54
	v_fmac_f16_e32 v132, -0.5, v139
	v_add_f16_e32 v140, v55, v58
	v_sub_f16_e32 v58, v58, v57
	v_add_f16_e32 v148, v62, v59
	v_sub_f16_e32 v59, v59, v64
	v_fmac_f16_e32 v55, -0.5, v142
	v_fmac_f16_e32 v135, -0.5, v146
	v_fma_f16 v62, -0.5, v149, v62
	v_fmac_f16_e32 v138, -0.5, v152
	v_add_f16_e32 v153, v63, v66
	v_sub_f16_e32 v66, v66, v65
	v_add_f16_e32 v160, v126, v67
	v_sub_f16_e32 v162, v169, v171
	;; [unrolled: 2-line block ×6, first 2 shown]
	v_fmac_f16_e32 v63, -0.5, v154
	v_fmac_f16_e32 v141, -0.5, v158
	v_fma_f16 v126, -0.5, v161, v126
	v_fmac_f16_e32 v144, -0.5, v165
	v_fmac_f16_e32 v127, -0.5, v168
	;; [unrolled: 1-line block ×5, first 2 shown]
	v_fmamk_f16 v146, v136, 0x3aee, v54
	v_fmac_f16_e32 v54, 0xbaee, v136
	v_fmamk_f16 v136, v48, 0xbaee, v132
	v_fmac_f16_e32 v132, 0x3aee, v48
	v_add_f16_e32 v56, v133, v56
	v_add_f16_e32 v133, v137, v155
	;; [unrolled: 1-line block ×5, first 2 shown]
	v_fmamk_f16 v48, v143, 0x3aee, v55
	v_fmac_f16_e32 v55, 0xbaee, v143
	v_fmamk_f16 v143, v58, 0xbaee, v135
	v_fmac_f16_e32 v135, 0x3aee, v58
	v_fmamk_f16 v58, v150, 0x3aee, v62
	v_fmamk_f16 v148, v59, 0xbaee, v138
	v_fmac_f16_e32 v62, 0xbaee, v150
	v_fmac_f16_e32 v138, 0x3aee, v59
	v_add_f16_e32 v137, v151, v163
	v_add_f16_e32 v65, v153, v65
	;; [unrolled: 1-line block ×9, first 2 shown]
	v_fmamk_f16 v59, v156, 0x3aee, v63
	v_fmac_f16_e32 v63, 0xbaee, v156
	v_fmamk_f16 v149, v66, 0xbaee, v141
	v_fmac_f16_e32 v141, 0x3aee, v66
	;; [unrolled: 2-line block ×8, first 2 shown]
	v_pack_b32_f16 v131, v146, v136
	v_pack_b32_f16 v54, v54, v132
	;; [unrolled: 1-line block ×21, first 2 shown]
	ds_write_b32 v68, v131 offset:1456
	ds_write_b32 v68, v54 offset:2912
	ds_write2_b32 v68, v56, v57 offset1:52
	ds_write2_b32 v60, v48, v58 offset0:160 offset1:212
	ds_write2_b32 v61, v55, v62 offset0:12 offset1:64
	;; [unrolled: 1-line block ×3, first 2 shown]
	ds_write_b32 v68, v63 offset:3536
	ds_write2_b32 v52, v59, v66 offset0:8 offset1:60
	ds_write2_b32 v53, v128, v129 offset0:80 offset1:132
	ds_write2_b32 v61, v126, v127 offset0:168 offset1:220
	ds_write_b32 v68, v49 offset:1248
	ds_write2_b32 v52, v67, v130 offset0:112 offset1:164
	ds_write_b32 v68, v132 offset:4160
	s_waitcnt lgkmcnt(0)
	s_barrier
	buffer_gl0_inv
	global_load_dword v58, v[23:24], off offset:272
	v_add_co_u32 v48, s1, 0x1110, v45
	v_add_co_ci_u32_e64 v49, s1, 0, v50, s1
	v_add_co_u32 v54, s1, 0x1800, v45
	v_add_co_ci_u32_e64 v55, s1, 0, v50, s1
	global_load_dword v64, v[48:49], off offset:208
	v_add_co_u32 v56, s1, 0x2000, v45
	v_add_co_ci_u32_e64 v57, s1, 0, v50, s1
	s_clause 0x11
	global_load_dword v132, v[54:55], off offset:408
	global_load_dword v133, v[54:55], off offset:616
	;; [unrolled: 1-line block ×18, first 2 shown]
	ds_read2_b32 v[54:55], v68 offset1:52
	v_add_nc_u32_e32 v148, 0x600, v68
	s_waitcnt lgkmcnt(0)
	v_lshrrev_b32_e32 v56, 16, v54
	v_lshrrev_b32_e32 v65, 16, v55
	s_waitcnt vmcnt(19)
	v_mul_f16_sdwa v57, v56, v58 dst_sel:DWORD dst_unused:UNUSED_PAD src0_sel:DWORD src1_sel:WORD_1
	v_mul_f16_sdwa v59, v54, v58 dst_sel:DWORD dst_unused:UNUSED_PAD src0_sel:DWORD src1_sel:WORD_1
	v_fma_f16 v54, v54, v58, -v57
	v_fmac_f16_e32 v59, v56, v58
	s_waitcnt vmcnt(18)
	v_mul_f16_sdwa v66, v55, v64 dst_sel:DWORD dst_unused:UNUSED_PAD src0_sel:DWORD src1_sel:WORD_1
	v_pack_b32_f16 v54, v54, v59
	v_fmac_f16_e32 v66, v65, v64
	ds_write_b32 v68, v54
	v_mul_f16_sdwa v54, v65, v64 dst_sel:DWORD dst_unused:UNUSED_PAD src0_sel:DWORD src1_sel:WORD_1
	ds_read2_b32 v[56:57], v52 offset0:34 offset1:86
	ds_read2_b32 v[58:59], v68 offset0:104 offset1:156
	;; [unrolled: 1-line block ×3, first 2 shown]
	v_fma_f16 v67, v55, v64, -v54
	ds_read2_b32 v[54:55], v53 offset0:80 offset1:132
	ds_read2_b32 v[64:65], v51 offset0:114 offset1:166
	v_pack_b32_f16 v149, v67, v66
	ds_read2_b32 v[66:67], v60 offset0:56 offset1:108
	ds_read2_b32 v[126:127], v61 offset0:90 offset1:142
	;; [unrolled: 1-line block ×4, first 2 shown]
	s_waitcnt lgkmcnt(8)
	v_lshrrev_b32_e32 v150, 16, v56
	s_waitcnt vmcnt(17)
	v_mul_f16_sdwa v151, v56, v132 dst_sel:DWORD dst_unused:UNUSED_PAD src0_sel:DWORD src1_sel:WORD_1
	v_lshrrev_b32_e32 v152, 16, v57
	s_waitcnt vmcnt(16)
	v_mul_f16_sdwa v153, v57, v133 dst_sel:DWORD dst_unused:UNUSED_PAD src0_sel:DWORD src1_sel:WORD_1
	s_waitcnt lgkmcnt(7)
	v_lshrrev_b32_e32 v154, 16, v58
	s_waitcnt vmcnt(15)
	v_mul_f16_sdwa v155, v58, v134 dst_sel:DWORD dst_unused:UNUSED_PAD src0_sel:DWORD src1_sel:WORD_1
	s_waitcnt lgkmcnt(6)
	v_lshrrev_b32_e32 v156, 16, v62
	s_waitcnt vmcnt(14)
	v_mul_f16_sdwa v157, v62, v135 dst_sel:DWORD dst_unused:UNUSED_PAD src0_sel:DWORD src1_sel:WORD_1
	v_lshrrev_b32_e32 v158, 16, v59
	s_waitcnt vmcnt(13)
	v_mul_f16_sdwa v159, v59, v136 dst_sel:DWORD dst_unused:UNUSED_PAD src0_sel:DWORD src1_sel:WORD_1
	;; [unrolled: 3-line block ×3, first 2 shown]
	s_waitcnt lgkmcnt(5)
	v_lshrrev_b32_e32 v162, 16, v54
	s_waitcnt vmcnt(11)
	v_mul_f16_sdwa v163, v54, v138 dst_sel:DWORD dst_unused:UNUSED_PAD src0_sel:DWORD src1_sel:WORD_1
	s_waitcnt lgkmcnt(4)
	v_lshrrev_b32_e32 v164, 16, v64
	s_waitcnt vmcnt(10)
	v_mul_f16_sdwa v165, v64, v139 dst_sel:DWORD dst_unused:UNUSED_PAD src0_sel:DWORD src1_sel:WORD_1
	v_lshrrev_b32_e32 v166, 16, v55
	s_waitcnt vmcnt(9)
	v_mul_f16_sdwa v167, v55, v140 dst_sel:DWORD dst_unused:UNUSED_PAD src0_sel:DWORD src1_sel:WORD_1
	;; [unrolled: 3-line block ×3, first 2 shown]
	s_waitcnt lgkmcnt(3)
	v_lshrrev_b32_e32 v170, 16, v66
	s_waitcnt vmcnt(6)
	v_mul_f16_sdwa v171, v66, v143 dst_sel:DWORD dst_unused:UNUSED_PAD src0_sel:DWORD src1_sel:WORD_1
	s_waitcnt lgkmcnt(2)
	v_lshrrev_b32_e32 v172, 16, v126
	v_mul_f16_sdwa v173, v126, v142 dst_sel:DWORD dst_unused:UNUSED_PAD src0_sel:DWORD src1_sel:WORD_1
	v_lshrrev_b32_e32 v174, 16, v67
	s_waitcnt vmcnt(5)
	v_mul_f16_sdwa v175, v67, v144 dst_sel:DWORD dst_unused:UNUSED_PAD src0_sel:DWORD src1_sel:WORD_1
	v_lshrrev_b32_e32 v176, 16, v127
	s_waitcnt vmcnt(4)
	v_mul_f16_sdwa v177, v127, v45 dst_sel:DWORD dst_unused:UNUSED_PAD src0_sel:DWORD src1_sel:WORD_1
	s_waitcnt lgkmcnt(1)
	v_lshrrev_b32_e32 v178, 16, v128
	s_waitcnt vmcnt(3)
	v_mul_f16_sdwa v179, v128, v50 dst_sel:DWORD dst_unused:UNUSED_PAD src0_sel:DWORD src1_sel:WORD_1
	s_waitcnt lgkmcnt(0)
	v_lshrrev_b32_e32 v180, 16, v130
	s_waitcnt vmcnt(2)
	v_mul_f16_sdwa v181, v130, v145 dst_sel:DWORD dst_unused:UNUSED_PAD src0_sel:DWORD src1_sel:WORD_1
	v_lshrrev_b32_e32 v182, 16, v129
	s_waitcnt vmcnt(1)
	v_mul_f16_sdwa v183, v129, v146 dst_sel:DWORD dst_unused:UNUSED_PAD src0_sel:DWORD src1_sel:WORD_1
	v_lshrrev_b32_e32 v184, 16, v131
	v_mul_f16_sdwa v186, v150, v132 dst_sel:DWORD dst_unused:UNUSED_PAD src0_sel:DWORD src1_sel:WORD_1
	v_fmac_f16_e32 v151, v150, v132
	v_mul_f16_sdwa v150, v152, v133 dst_sel:DWORD dst_unused:UNUSED_PAD src0_sel:DWORD src1_sel:WORD_1
	v_fmac_f16_e32 v153, v152, v133
	;; [unrolled: 2-line block ×10, first 2 shown]
	v_mul_f16_sdwa v168, v170, v143 dst_sel:DWORD dst_unused:UNUSED_PAD src0_sel:DWORD src1_sel:WORD_1
	s_waitcnt vmcnt(0)
	v_mul_f16_sdwa v185, v131, v147 dst_sel:DWORD dst_unused:UNUSED_PAD src0_sel:DWORD src1_sel:WORD_1
	v_fmac_f16_e32 v171, v170, v143
	v_mul_f16_sdwa v170, v172, v142 dst_sel:DWORD dst_unused:UNUSED_PAD src0_sel:DWORD src1_sel:WORD_1
	v_fmac_f16_e32 v173, v172, v142
	;; [unrolled: 2-line block ×7, first 2 shown]
	v_mul_f16_sdwa v182, v184, v147 dst_sel:DWORD dst_unused:UNUSED_PAD src0_sel:DWORD src1_sel:WORD_1
	v_fma_f16 v58, v58, v134, -v152
	v_fma_f16 v57, v57, v133, -v150
	;; [unrolled: 1-line block ×9, first 2 shown]
	v_fmac_f16_e32 v185, v184, v147
	v_fma_f16 v56, v56, v132, -v186
	v_fma_f16 v65, v65, v141, -v166
	;; [unrolled: 1-line block ×9, first 2 shown]
	v_pack_b32_f16 v58, v58, v155
	v_pack_b32_f16 v57, v57, v153
	;; [unrolled: 1-line block ×18, first 2 shown]
	ds_write2_b32 v68, v149, v58 offset0:52 offset1:104
	ds_write2_b32 v52, v57, v62 offset0:86 offset1:138
	;; [unrolled: 1-line block ×9, first 2 shown]
	ds_write_b32 v68, v129 offset:4056
	s_and_saveexec_b32 s2, vcc_lo
	s_cbranch_execz .LBB0_17
; %bb.16:
	v_add_co_u32 v54, s1, 0x800, v48
	v_add_co_ci_u32_e64 v55, s1, 0, v49, s1
	v_add_co_u32 v48, s1, 0x1000, v48
	v_add_co_ci_u32_e64 v49, s1, 0, v49, s1
	s_clause 0x1
	global_load_dword v45, v[54:55], off offset:32
	global_load_dword v48, v[48:49], off offset:168
	ds_read_b32 v49, v68 offset:2080
	ds_read_b32 v50, v68 offset:4264
	s_waitcnt lgkmcnt(1)
	v_lshrrev_b32_e32 v54, 16, v49
	s_waitcnt lgkmcnt(0)
	v_lshrrev_b32_e32 v55, 16, v50
	s_waitcnt vmcnt(1)
	v_mul_f16_sdwa v56, v54, v45 dst_sel:DWORD dst_unused:UNUSED_PAD src0_sel:DWORD src1_sel:WORD_1
	v_mul_f16_sdwa v57, v49, v45 dst_sel:DWORD dst_unused:UNUSED_PAD src0_sel:DWORD src1_sel:WORD_1
	s_waitcnt vmcnt(0)
	v_mul_f16_sdwa v58, v55, v48 dst_sel:DWORD dst_unused:UNUSED_PAD src0_sel:DWORD src1_sel:WORD_1
	v_mul_f16_sdwa v59, v50, v48 dst_sel:DWORD dst_unused:UNUSED_PAD src0_sel:DWORD src1_sel:WORD_1
	v_fma_f16 v49, v49, v45, -v56
	v_fmac_f16_e32 v57, v54, v45
	v_fma_f16 v45, v50, v48, -v58
	v_fmac_f16_e32 v59, v55, v48
	v_pack_b32_f16 v48, v49, v57
	v_pack_b32_f16 v45, v45, v59
	ds_write_b32 v68, v48 offset:2080
	ds_write_b32 v68, v45 offset:4264
.LBB0_17:
	s_or_b32 exec_lo, exec_lo, s2
	s_waitcnt lgkmcnt(0)
	s_barrier
	buffer_gl0_inv
	ds_read2_b32 v[56:57], v68 offset1:52
	ds_read2_b32 v[62:63], v52 offset0:34 offset1:86
	ds_read2_b32 v[54:55], v68 offset0:104 offset1:156
	;; [unrolled: 1-line block ×9, first 2 shown]
	v_lshlrev_b32_e32 v126, 2, v111
	v_lshlrev_b32_e32 v127, 2, v112
	;; [unrolled: 1-line block ×3, first 2 shown]
	s_and_saveexec_b32 s1, vcc_lo
	s_cbranch_execz .LBB0_19
; %bb.18:
	ds_read_b32 v47, v68 offset:2080
	ds_read_b32 v122, v68 offset:4264
	s_waitcnt lgkmcnt(1)
	v_lshrrev_b32_e32 v125, 16, v47
	s_waitcnt lgkmcnt(0)
	v_lshrrev_b32_e32 v123, 16, v122
.LBB0_19:
	s_or_b32 exec_lo, exec_lo, s1
	s_waitcnt lgkmcnt(8)
	v_pk_add_f16 v62, v56, v62 neg_lo:[0,1] neg_hi:[0,1]
	v_pk_add_f16 v129, v57, v63 neg_lo:[0,1] neg_hi:[0,1]
	s_waitcnt lgkmcnt(6)
	v_pk_add_f16 v64, v54, v64 neg_lo:[0,1] neg_hi:[0,1]
	v_pk_add_f16 v131, v55, v65 neg_lo:[0,1] neg_hi:[0,1]
	;; [unrolled: 3-line block ×3, first 2 shown]
	v_sub_f16_e32 v45, v47, v122
	v_sub_f16_e32 v67, v125, v123
	s_waitcnt lgkmcnt(0)
	v_pk_add_f16 v134, v49, v61 neg_lo:[0,1] neg_hi:[0,1]
	v_pk_fma_f16 v61, v56, 2.0, v62 op_sel_hi:[1,0,1] neg_lo:[0,0,1] neg_hi:[0,0,1]
	v_pk_add_f16 v58, v50, v58 neg_lo:[0,1] neg_hi:[0,1]
	v_pk_fma_f16 v128, v57, 2.0, v129 op_sel_hi:[1,0,1] neg_lo:[0,0,1] neg_hi:[0,0,1]
	;; [unrolled: 2-line block ×4, first 2 shown]
	v_pk_fma_f16 v65, v52, 2.0, v66 op_sel_hi:[1,0,1] neg_lo:[0,0,1] neg_hi:[0,0,1]
	v_fma_f16 v111, v47, 2.0, -v45
	v_fma_f16 v112, v125, 2.0, -v67
	s_barrier
	buffer_gl0_inv
	ds_write_b64 v93, v[61:62]
	ds_write_b64 v94, v[128:129]
	;; [unrolled: 1-line block ×5, first 2 shown]
	v_pk_fma_f16 v131, v53, 2.0, v132 op_sel_hi:[1,0,1] neg_lo:[0,0,1] neg_hi:[0,0,1]
	v_pk_fma_f16 v57, v50, 2.0, v58 op_sel_hi:[1,0,1] neg_lo:[0,0,1] neg_hi:[0,0,1]
	;; [unrolled: 1-line block ×5, first 2 shown]
	ds_write_b64 v96, v[131:132]
	ds_write_b64 v98, v[57:58]
	;; [unrolled: 1-line block ×5, first 2 shown]
	s_and_saveexec_b32 s1, vcc_lo
	s_cbranch_execz .LBB0_21
; %bb.20:
	v_perm_b32 v48, v67, v45, 0x5040100
	v_perm_b32 v47, v112, v111, 0x5040100
	ds_write_b64 v100, v[47:48]
.LBB0_21:
	s_or_b32 exec_lo, exec_lo, s1
	v_add_nc_u32_e32 v49, 0x800, v68
	v_add_nc_u32_e32 v50, 0x200, v68
	;; [unrolled: 1-line block ×5, first 2 shown]
	s_waitcnt lgkmcnt(0)
	s_barrier
	buffer_gl0_inv
	ds_read2_b32 v[55:56], v68 offset1:52
	ds_read2_b32 v[63:64], v49 offset0:34 offset1:86
	ds_read2_b32 v[47:48], v68 offset0:104 offset1:156
	ds_read2_b32 v[65:66], v49 offset0:138 offset1:190
	ds_read2_b32 v[53:54], v50 offset0:80 offset1:132
	ds_read2_b32 v[61:62], v51 offset0:114 offset1:166
	ds_read2_b32 v[51:52], v57 offset0:56 offset1:108
	ds_read2_b32 v[59:60], v58 offset0:90 offset1:142
	ds_read2_b32 v[49:50], v57 offset0:160 offset1:212
	ds_read2_b32 v[57:58], v58 offset0:194 offset1:246
	s_and_saveexec_b32 s1, vcc_lo
	s_cbranch_execz .LBB0_23
; %bb.22:
	ds_read_b32 v111, v68 offset:2080
	ds_read_b32 v45, v68 offset:4264
	s_waitcnt lgkmcnt(1)
	v_lshrrev_b32_e32 v112, 16, v111
	s_waitcnt lgkmcnt(0)
	v_lshrrev_b32_e32 v67, 16, v45
.LBB0_23:
	s_or_b32 exec_lo, exec_lo, s1
	s_waitcnt lgkmcnt(8)
	v_lshrrev_b32_e32 v94, 16, v63
	v_lshrrev_b32_e32 v96, 16, v64
	s_waitcnt lgkmcnt(6)
	v_lshrrev_b32_e32 v99, 16, v65
	v_mul_f16_sdwa v134, v92, v63 dst_sel:DWORD dst_unused:UNUSED_PAD src0_sel:WORD_1 src1_sel:DWORD
	v_mul_f16_sdwa v137, v92, v64 dst_sel:DWORD dst_unused:UNUSED_PAD src0_sel:WORD_1 src1_sel:DWORD
	;; [unrolled: 1-line block ×4, first 2 shown]
	v_lshrrev_b32_e32 v113, 16, v66
	s_waitcnt lgkmcnt(4)
	v_lshrrev_b32_e32 v123, 16, v61
	s_waitcnt lgkmcnt(2)
	v_lshrrev_b32_e32 v127, 16, v59
	v_fmac_f16_e32 v133, v92, v63
	v_fma_f16 v63, v92, v94, -v134
	v_fmac_f16_e32 v135, v92, v64
	v_mul_f16_sdwa v64, v92, v99 dst_sel:DWORD dst_unused:UNUSED_PAD src0_sel:WORD_1 src1_sel:DWORD
	v_fma_f16 v94, v92, v96, -v137
	v_mul_f16_sdwa v96, v92, v65 dst_sel:DWORD dst_unused:UNUSED_PAD src0_sel:WORD_1 src1_sel:DWORD
	v_mul_f16_sdwa v134, v92, v113 dst_sel:DWORD dst_unused:UNUSED_PAD src0_sel:WORD_1 src1_sel:DWORD
	;; [unrolled: 1-line block ×3, first 2 shown]
	v_lshrrev_b32_e32 v125, 16, v62
	v_fmac_f16_e32 v64, v92, v65
	v_mul_f16_sdwa v65, v92, v123 dst_sel:DWORD dst_unused:UNUSED_PAD src0_sel:WORD_1 src1_sel:DWORD
	v_fma_f16 v96, v92, v99, -v96
	v_mul_f16_sdwa v99, v92, v61 dst_sel:DWORD dst_unused:UNUSED_PAD src0_sel:WORD_1 src1_sel:DWORD
	v_lshrrev_b32_e32 v129, 16, v60
	v_fmac_f16_e32 v134, v92, v66
	v_fma_f16 v66, v92, v113, -v137
	v_mul_f16_sdwa v137, v92, v127 dst_sel:DWORD dst_unused:UNUSED_PAD src0_sel:WORD_1 src1_sel:DWORD
	s_waitcnt lgkmcnt(0)
	v_lshrrev_b32_e32 v131, 16, v57
	v_fmac_f16_e32 v65, v92, v61
	v_mul_f16_sdwa v61, v92, v125 dst_sel:DWORD dst_unused:UNUSED_PAD src0_sel:WORD_1 src1_sel:DWORD
	v_mul_f16_sdwa v113, v92, v62 dst_sel:DWORD dst_unused:UNUSED_PAD src0_sel:WORD_1 src1_sel:DWORD
	v_fma_f16 v99, v92, v123, -v99
	v_mul_f16_sdwa v123, v92, v59 dst_sel:DWORD dst_unused:UNUSED_PAD src0_sel:WORD_1 src1_sel:DWORD
	v_lshrrev_b32_e32 v136, 16, v58
	v_fmac_f16_e32 v137, v92, v59
	v_mul_f16_sdwa v59, v92, v129 dst_sel:DWORD dst_unused:UNUSED_PAD src0_sel:WORD_1 src1_sel:DWORD
	v_fmac_f16_e32 v61, v92, v62
	v_fma_f16 v62, v92, v125, -v113
	v_fma_f16 v113, v92, v127, -v123
	v_mul_f16_sdwa v125, v92, v131 dst_sel:DWORD dst_unused:UNUSED_PAD src0_sel:WORD_1 src1_sel:DWORD
	v_mul_f16_sdwa v127, v92, v57 dst_sel:DWORD dst_unused:UNUSED_PAD src0_sel:WORD_1 src1_sel:DWORD
	;; [unrolled: 1-line block ×3, first 2 shown]
	v_fmac_f16_e32 v59, v92, v60
	v_mul_f16_sdwa v60, v92, v136 dst_sel:DWORD dst_unused:UNUSED_PAD src0_sel:WORD_1 src1_sel:DWORD
	v_sub_f16_e32 v64, v47, v64
	v_lshrrev_b32_e32 v93, 16, v55
	v_lshrrev_b32_e32 v95, 16, v56
	v_fmac_f16_e32 v125, v92, v57
	v_fma_f16 v57, v92, v131, -v127
	v_mul_f16_sdwa v127, v92, v58 dst_sel:DWORD dst_unused:UNUSED_PAD src0_sel:WORD_1 src1_sel:DWORD
	v_lshrrev_b32_e32 v98, 16, v47
	v_lshrrev_b32_e32 v100, 16, v48
	;; [unrolled: 1-line block ×3, first 2 shown]
	v_fmac_f16_e32 v60, v92, v58
	v_mul_f16_sdwa v58, v92, v67 dst_sel:DWORD dst_unused:UNUSED_PAD src0_sel:WORD_1 src1_sel:DWORD
	v_fma_f16 v140, v47, 2.0, -v64
	v_sub_f16_e32 v65, v53, v65
	v_sub_f16_e32 v47, v51, v137
	v_lshrrev_b32_e32 v124, 16, v54
	v_fma_f16 v123, v92, v129, -v123
	v_mul_f16_sdwa v129, v92, v45 dst_sel:DWORD dst_unused:UNUSED_PAD src0_sel:WORD_1 src1_sel:DWORD
	v_sub_f16_e32 v131, v55, v133
	v_sub_f16_e32 v63, v93, v63
	v_lshrrev_b32_e32 v126, 16, v51
	v_fma_f16 v127, v92, v136, -v127
	v_sub_f16_e32 v133, v56, v135
	v_sub_f16_e32 v136, v95, v94
	v_lshrrev_b32_e32 v128, 16, v52
	v_sub_f16_e32 v138, v98, v96
	v_lshrrev_b32_e32 v130, 16, v49
	v_sub_f16_e32 v134, v48, v134
	v_sub_f16_e32 v66, v100, v66
	v_lshrrev_b32_e32 v132, 16, v50
	v_fmac_f16_e32 v58, v92, v45
	v_sub_f16_e32 v143, v122, v99
	v_sub_f16_e32 v61, v54, v61
	v_fma_f16 v145, v53, 2.0, -v65
	v_sub_f16_e32 v53, v52, v59
	v_fma_f16 v59, v51, 2.0, -v47
	v_sub_f16_e32 v51, v49, v125
	v_fma_f16 v129, v92, v67, -v129
	v_fma_f16 v55, v55, 2.0, -v131
	v_fma_f16 v135, v93, 2.0, -v63
	v_sub_f16_e32 v62, v124, v62
	v_fma_f16 v56, v56, 2.0, -v133
	v_fma_f16 v139, v95, 2.0, -v136
	v_sub_f16_e32 v67, v126, v113
	v_fma_f16 v141, v98, 2.0, -v138
	v_sub_f16_e32 v98, v128, v123
	v_fma_f16 v142, v48, 2.0, -v134
	v_fma_f16 v144, v100, 2.0, -v66
	v_sub_f16_e32 v95, v130, v57
	v_fma_f16 v122, v122, 2.0, -v143
	v_fma_f16 v146, v54, 2.0, -v61
	;; [unrolled: 1-line block ×3, first 2 shown]
	v_sub_f16_e32 v49, v50, v60
	v_sub_f16_e32 v92, v132, v127
	;; [unrolled: 1-line block ×3, first 2 shown]
	v_fma_f16 v124, v124, 2.0, -v62
	v_sub_f16_e32 v96, v112, v129
	v_pack_b32_f16 v55, v55, v135
	v_pack_b32_f16 v57, v131, v63
	v_fma_f16 v113, v126, 2.0, -v67
	v_pack_b32_f16 v56, v56, v139
	v_pack_b32_f16 v58, v133, v136
	v_fma_f16 v48, v52, 2.0, -v53
	v_fma_f16 v100, v128, 2.0, -v98
	v_pack_b32_f16 v60, v140, v141
	v_pack_b32_f16 v63, v64, v138
	v_fma_f16 v99, v130, 2.0, -v95
	v_pack_b32_f16 v64, v142, v144
	v_pack_b32_f16 v66, v134, v66
	v_fma_f16 v52, v50, 2.0, -v49
	v_fma_f16 v94, v132, 2.0, -v92
	;; [unrolled: 1-line block ×3, first 2 shown]
	v_pack_b32_f16 v111, v145, v122
	v_pack_b32_f16 v65, v65, v143
	v_fma_f16 v93, v112, 2.0, -v96
	s_barrier
	buffer_gl0_inv
	ds_write2_b32 v106, v55, v57 offset1:2
	ds_write2_b32 v107, v56, v58 offset1:2
	;; [unrolled: 1-line block ×5, first 2 shown]
	v_pack_b32_f16 v55, v146, v124
	v_pack_b32_f16 v56, v61, v62
	;; [unrolled: 1-line block ×10, first 2 shown]
	ds_write2_b32 v101, v55, v56 offset1:2
	ds_write2_b32 v102, v57, v58 offset1:2
	;; [unrolled: 1-line block ×5, first 2 shown]
	s_and_saveexec_b32 s1, vcc_lo
	s_cbranch_execz .LBB0_25
; %bb.24:
	v_and_or_b32 v55, 0x47c, v97, v91
	v_perm_b32 v56, v93, v50, 0x5040100
	v_perm_b32 v57, v96, v45, 0x5040100
	v_lshlrev_b32_e32 v55, 2, v55
	ds_write2_b32 v55, v56, v57 offset1:2
.LBB0_25:
	s_or_b32 exec_lo, exec_lo, s1
	v_add_nc_u32_e32 v101, 0x400, v68
	v_add_nc_u32_e32 v57, 0x600, v68
	;; [unrolled: 1-line block ×4, first 2 shown]
	s_waitcnt lgkmcnt(0)
	s_barrier
	buffer_gl0_inv
	ds_read2_b32 v[55:56], v68 offset1:84
	ds_read2_b32 v[65:66], v68 offset0:168 offset1:252
	ds_read2_b32 v[63:64], v101 offset0:80 offset1:164
	;; [unrolled: 1-line block ×5, first 2 shown]
	ds_read_b32 v91, v68 offset:4032
	s_and_saveexec_b32 s1, s0
	s_cbranch_execz .LBB0_27
; %bb.26:
	v_add_nc_u32_e32 v45, 0x200, v68
	v_add_nc_u32_e32 v46, 0xa00, v68
	ds_read2_b32 v[47:48], v68 offset0:52 offset1:136
	ds_read2_b32 v[51:52], v101 offset0:132 offset1:216
	;; [unrolled: 1-line block ×6, first 2 shown]
	ds_read_b32 v120, v68 offset:4240
	s_waitcnt lgkmcnt(6)
	v_lshrrev_b32_e32 v67, 16, v47
	v_lshrrev_b32_e32 v100, 16, v48
	s_waitcnt lgkmcnt(5)
	v_lshrrev_b32_e32 v95, 16, v51
	v_lshrrev_b32_e32 v94, 16, v52
	;; [unrolled: 3-line block ×6, first 2 shown]
	s_waitcnt lgkmcnt(0)
	v_lshrrev_b32_e32 v121, 16, v120
.LBB0_27:
	s_or_b32 exec_lo, exec_lo, s1
	s_waitcnt lgkmcnt(6)
	v_lshrrev_b32_e32 v97, 16, v56
	s_waitcnt lgkmcnt(5)
	v_lshrrev_b32_e32 v101, 16, v65
	v_lshrrev_b32_e32 v102, 16, v66
	v_mul_f16_sdwa v113, v4, v56 dst_sel:DWORD dst_unused:UNUSED_PAD src0_sel:WORD_1 src1_sel:DWORD
	v_mul_f16_sdwa v123, v5, v65 dst_sel:DWORD dst_unused:UNUSED_PAD src0_sel:WORD_1 src1_sel:DWORD
	;; [unrolled: 1-line block ×5, first 2 shown]
	s_waitcnt lgkmcnt(4)
	v_lshrrev_b32_e32 v103, 16, v63
	v_lshrrev_b32_e32 v104, 16, v64
	v_fmac_f16_e32 v111, v4, v56
	v_fma_f16 v56, v4, v97, -v113
	v_fma_f16 v97, v5, v101, -v123
	v_mul_f16_sdwa v101, v6, v66 dst_sel:DWORD dst_unused:UNUSED_PAD src0_sel:WORD_1 src1_sel:DWORD
	v_fmac_f16_e32 v124, v6, v66
	v_mul_f16_sdwa v66, v7, v63 dst_sel:DWORD dst_unused:UNUSED_PAD src0_sel:WORD_1 src1_sel:DWORD
	s_waitcnt lgkmcnt(3)
	v_lshrrev_b32_e32 v105, 16, v61
	v_fmac_f16_e32 v122, v5, v65
	v_fma_f16 v101, v6, v102, -v101
	v_mul_f16_sdwa v102, v0, v64 dst_sel:DWORD dst_unused:UNUSED_PAD src0_sel:WORD_1 src1_sel:DWORD
	v_mul_f16_sdwa v113, v7, v103 dst_sel:DWORD dst_unused:UNUSED_PAD src0_sel:WORD_1 src1_sel:DWORD
	;; [unrolled: 1-line block ×3, first 2 shown]
	v_fma_f16 v103, v7, v103, -v66
	v_lshrrev_b32_e32 v106, 16, v62
	v_fma_f16 v66, v0, v104, -v102
	v_add_f16_e32 v102, v55, v111
	v_add_f16_sdwa v104, v55, v56 dst_sel:DWORD dst_unused:UNUSED_PAD src0_sel:WORD_1 src1_sel:DWORD
	s_waitcnt lgkmcnt(2)
	v_lshrrev_b32_e32 v107, 16, v59
	v_fmac_f16_e32 v113, v7, v63
	v_fmac_f16_e32 v65, v0, v64
	v_mul_f16_sdwa v63, v1, v105 dst_sel:DWORD dst_unused:UNUSED_PAD src0_sel:WORD_1 src1_sel:DWORD
	v_mul_f16_sdwa v64, v1, v61 dst_sel:DWORD dst_unused:UNUSED_PAD src0_sel:WORD_1 src1_sel:DWORD
	v_add_f16_e32 v102, v102, v122
	v_add_f16_e32 v104, v104, v97
	v_mul_f16_sdwa v123, v3, v107 dst_sel:DWORD dst_unused:UNUSED_PAD src0_sel:WORD_1 src1_sel:DWORD
	v_fmac_f16_e32 v63, v1, v61
	v_mul_f16_sdwa v61, v2, v106 dst_sel:DWORD dst_unused:UNUSED_PAD src0_sel:WORD_1 src1_sel:DWORD
	v_fma_f16 v64, v1, v105, -v64
	v_mul_f16_sdwa v105, v2, v62 dst_sel:DWORD dst_unused:UNUSED_PAD src0_sel:WORD_1 src1_sel:DWORD
	v_add_f16_e32 v102, v102, v124
	v_add_f16_e32 v104, v104, v101
	v_lshrrev_b32_e32 v108, 16, v60
	v_fmac_f16_e32 v61, v2, v62
	v_fma_f16 v62, v2, v106, -v105
	v_mul_f16_sdwa v105, v3, v59 dst_sel:DWORD dst_unused:UNUSED_PAD src0_sel:WORD_1 src1_sel:DWORD
	v_fmac_f16_e32 v123, v3, v59
	v_add_f16_e32 v59, v102, v113
	v_add_f16_e32 v102, v104, v103
	s_waitcnt lgkmcnt(1)
	v_lshrrev_b32_e32 v109, 16, v57
	v_mul_f16_sdwa v104, v8, v108 dst_sel:DWORD dst_unused:UNUSED_PAD src0_sel:WORD_1 src1_sel:DWORD
	v_fma_f16 v105, v3, v107, -v105
	v_add_f16_e32 v59, v59, v65
	v_add_f16_e32 v102, v102, v66
	v_mul_f16_sdwa v106, v8, v60 dst_sel:DWORD dst_unused:UNUSED_PAD src0_sel:WORD_1 src1_sel:DWORD
	v_fmac_f16_e32 v104, v8, v60
	v_mul_f16_sdwa v60, v9, v109 dst_sel:DWORD dst_unused:UNUSED_PAD src0_sel:WORD_1 src1_sel:DWORD
	v_add_f16_e32 v59, v59, v63
	v_add_f16_e32 v102, v102, v64
	v_mul_f16_sdwa v107, v9, v57 dst_sel:DWORD dst_unused:UNUSED_PAD src0_sel:WORD_1 src1_sel:DWORD
	v_lshrrev_b32_e32 v110, 16, v58
	s_waitcnt lgkmcnt(0)
	v_lshrrev_b32_e32 v112, 16, v91
	v_fmac_f16_e32 v60, v9, v57
	v_add_f16_e32 v57, v59, v61
	v_add_f16_e32 v59, v102, v62
	v_fma_f16 v102, v9, v109, -v107
	v_mul_f16_sdwa v107, v11, v91 dst_sel:DWORD dst_unused:UNUSED_PAD src0_sel:WORD_1 src1_sel:DWORD
	v_fma_f16 v106, v8, v108, -v106
	v_mul_f16_sdwa v108, v10, v110 dst_sel:DWORD dst_unused:UNUSED_PAD src0_sel:WORD_1 src1_sel:DWORD
	v_add_f16_e32 v57, v57, v123
	v_add_f16_e32 v59, v59, v105
	v_mul_f16_sdwa v109, v11, v112 dst_sel:DWORD dst_unused:UNUSED_PAD src0_sel:WORD_1 src1_sel:DWORD
	v_fma_f16 v107, v11, v112, -v107
	v_fmac_f16_e32 v108, v10, v58
	v_mul_f16_sdwa v58, v10, v58 dst_sel:DWORD dst_unused:UNUSED_PAD src0_sel:WORD_1 src1_sel:DWORD
	v_add_f16_e32 v57, v57, v104
	v_add_f16_e32 v59, v59, v106
	v_fmac_f16_e32 v109, v11, v91
	v_sub_f16_e32 v91, v56, v107
	v_fma_f16 v58, v10, v110, -v58
	v_add_f16_e32 v57, v57, v60
	v_add_f16_e32 v59, v59, v102
	;; [unrolled: 1-line block ×3, first 2 shown]
	v_mul_f16_e32 v112, 0xb770, v91
	v_add_f16_e32 v125, v56, v107
	v_add_f16_e32 v56, v57, v108
	v_add_f16_e32 v57, v59, v58
	v_sub_f16_e32 v59, v111, v109
	v_fmamk_f16 v111, v110, 0x3b15, v112
	v_sub_f16_e32 v143, v97, v58
	v_mul_f16_e32 v126, 0x3b15, v125
	v_add_f16_e32 v57, v57, v107
	v_mul_f16_e32 v127, 0x388b, v125
	v_add_f16_e32 v107, v55, v111
	v_mul_f16_e32 v111, 0xba95, v91
	v_mul_f16_e32 v130, 0xbbf1, v91
	;; [unrolled: 1-line block ×9, first 2 shown]
	v_add_f16_e32 v145, v122, v108
	v_mul_f16_e32 v146, 0xba95, v143
	v_add_f16_e32 v58, v97, v58
	v_add_f16_e32 v56, v56, v109
	v_fmamk_f16 v109, v59, 0x3770, v126
	v_fma_f16 v112, v110, 0x3b15, -v112
	v_fmac_f16_e32 v126, 0xb770, v59
	v_fmamk_f16 v128, v110, 0x388b, v111
	v_fmamk_f16 v129, v59, 0x3a95, v127
	v_fma_f16 v111, v110, 0x388b, -v111
	v_fmac_f16_e32 v127, 0xba95, v59
	v_fmamk_f16 v131, v110, 0x2fb7, v130
	;; [unrolled: 4-line block ×5, first 2 shown]
	v_fmamk_f16 v144, v59, 0x33a8, v125
	v_fma_f16 v91, v110, 0xbbc4, -v91
	v_fmac_f16_e32 v125, 0xb3a8, v59
	v_sub_f16_e32 v59, v122, v108
	v_fmamk_f16 v97, v145, 0x388b, v146
	v_mul_f16_e32 v108, 0x388b, v58
	v_add_f16_sdwa v109, v55, v109 dst_sel:DWORD dst_unused:UNUSED_PAD src0_sel:WORD_1 src1_sel:DWORD
	v_add_f16_e32 v112, v55, v112
	v_add_f16_sdwa v126, v55, v126 dst_sel:DWORD dst_unused:UNUSED_PAD src0_sel:WORD_1 src1_sel:DWORD
	v_add_f16_e32 v128, v55, v128
	;; [unrolled: 2-line block ×12, first 2 shown]
	v_fmamk_f16 v107, v59, 0x3a95, v108
	v_mul_f16_e32 v122, 0xbb7b, v143
	v_fma_f16 v125, v145, 0x388b, -v146
	v_fmac_f16_e32 v108, 0xba95, v59
	v_mul_f16_e32 v144, 0xb5ac, v58
	v_add_f16_e32 v107, v107, v109
	v_fmamk_f16 v109, v145, 0xb5ac, v122
	v_add_f16_e32 v112, v125, v112
	v_add_f16_e32 v108, v108, v126
	v_fmamk_f16 v125, v59, 0x3b7b, v144
	v_mul_f16_e32 v126, 0xb3a8, v143
	v_add_f16_e32 v109, v109, v128
	v_fma_f16 v122, v145, 0xb5ac, -v122
	v_fmac_f16_e32 v144, 0xbb7b, v59
	v_add_f16_e32 v125, v125, v129
	v_fmamk_f16 v128, v145, 0xbbc4, v126
	v_mul_f16_e32 v129, 0xbbc4, v58
	v_add_f16_e32 v111, v122, v111
	v_add_f16_e32 v122, v144, v127
	v_mul_f16_e32 v127, 0x394e, v143
	v_add_f16_e32 v128, v128, v131
	v_fmamk_f16 v131, v59, 0x33a8, v129
	v_fmac_f16_e32 v129, 0xb3a8, v59
	v_mul_f16_e32 v146, 0xb9fd, v58
	v_fma_f16 v126, v145, 0xbbc4, -v126
	v_fmamk_f16 v144, v145, 0xb9fd, v127
	v_add_f16_e32 v131, v131, v134
	v_add_f16_e32 v129, v129, v132
	v_fmamk_f16 v132, v59, 0xb94e, v146
	v_mul_f16_e32 v134, 0x3bf1, v143
	v_add_f16_e32 v126, v126, v130
	v_add_f16_e32 v130, v144, v135
	v_fma_f16 v127, v145, 0xb9fd, -v127
	v_mul_f16_e32 v135, 0x2fb7, v58
	v_add_f16_e32 v132, v132, v137
	v_fmamk_f16 v137, v145, 0x2fb7, v134
	v_mul_f16_e32 v143, 0x3770, v143
	v_fma_f16 v134, v145, 0x2fb7, -v134
	v_add_f16_e32 v127, v127, v133
	v_fmamk_f16 v133, v59, 0xbbf1, v135
	v_add_f16_e32 v137, v137, v140
	v_fmac_f16_e32 v135, 0x3bf1, v59
	v_fmamk_f16 v140, v145, 0x3b15, v143
	v_add_f16_e32 v134, v134, v138
	v_sub_f16_e32 v138, v101, v102
	v_add_f16_e32 v133, v133, v141
	v_mul_f16_e32 v58, 0x3b15, v58
	v_add_f16_e32 v135, v135, v139
	v_add_f16_e32 v139, v140, v142
	;; [unrolled: 1-line block ×3, first 2 shown]
	v_mul_f16_e32 v142, 0xbbf1, v138
	v_add_f16_e32 v101, v101, v102
	v_fmac_f16_e32 v146, 0x394e, v59
	v_fmamk_f16 v140, v59, 0xb770, v58
	v_fma_f16 v102, v145, 0x3b15, -v143
	v_fmac_f16_e32 v58, 0x3770, v59
	v_sub_f16_e32 v59, v124, v60
	v_fmamk_f16 v60, v141, 0x2fb7, v142
	v_mul_f16_e32 v124, 0x2fb7, v101
	v_add_f16_e32 v110, v140, v110
	v_add_f16_e32 v91, v102, v91
	;; [unrolled: 1-line block ×4, first 2 shown]
	v_fmamk_f16 v60, v59, 0x3bf1, v124
	v_mul_f16_e32 v97, 0xb3a8, v138
	v_fma_f16 v102, v141, 0x2fb7, -v142
	v_fmac_f16_e32 v124, 0xbbf1, v59
	v_mul_f16_e32 v140, 0xbbc4, v101
	v_add_f16_e32 v60, v60, v107
	v_fmamk_f16 v107, v141, 0xbbc4, v97
	v_add_f16_e32 v102, v102, v112
	v_add_f16_e32 v108, v124, v108
	v_fmamk_f16 v112, v59, 0x33a8, v140
	v_mul_f16_e32 v124, 0x3b7b, v138
	v_fma_f16 v97, v141, 0xbbc4, -v97
	v_fmac_f16_e32 v140, 0xb3a8, v59
	v_add_f16_e32 v107, v107, v109
	v_add_f16_e32 v109, v112, v125
	v_fmamk_f16 v112, v141, 0xb5ac, v124
	v_mul_f16_e32 v125, 0xb5ac, v101
	v_add_f16_e32 v97, v97, v111
	v_add_f16_e32 v111, v140, v122
	v_mul_f16_e32 v122, 0x3770, v138
	v_add_f16_e32 v112, v112, v128
	v_fmamk_f16 v128, v59, 0xbb7b, v125
	v_fma_f16 v124, v141, 0xb5ac, -v124
	v_fmac_f16_e32 v125, 0x3b7b, v59
	v_fmamk_f16 v140, v141, 0x3b15, v122
	v_mul_f16_e32 v142, 0x3b15, v101
	v_add_f16_e32 v128, v128, v131
	v_add_f16_e32 v124, v124, v126
	;; [unrolled: 1-line block ×4, first 2 shown]
	v_fmamk_f16 v129, v59, 0xb770, v142
	v_mul_f16_e32 v130, 0xba95, v138
	v_fma_f16 v122, v141, 0x3b15, -v122
	v_mul_f16_e32 v131, 0x388b, v101
	v_mul_f16_e32 v138, 0xb94e, v138
	v_add_f16_e32 v129, v129, v132
	v_fmamk_f16 v132, v141, 0x388b, v130
	v_add_f16_e32 v122, v122, v127
	v_fmamk_f16 v127, v59, 0x3a95, v131
	v_fma_f16 v130, v141, 0x388b, -v130
	v_fmac_f16_e32 v131, 0xba95, v59
	v_add_f16_e32 v132, v132, v137
	v_mul_f16_e32 v101, 0xb9fd, v101
	v_add_f16_e32 v127, v127, v133
	v_fmamk_f16 v133, v141, 0xb9fd, v138
	v_add_f16_e32 v130, v130, v134
	v_sub_f16_e32 v134, v103, v106
	v_add_f16_e32 v137, v113, v104
	v_add_f16_e32 v103, v103, v106
	;; [unrolled: 1-line block ×3, first 2 shown]
	v_fmac_f16_e32 v142, 0x3770, v59
	v_mul_f16_e32 v139, 0xbb7b, v134
	v_add_f16_e32 v131, v131, v135
	v_fmamk_f16 v135, v59, 0x394e, v101
	v_fma_f16 v106, v141, 0xb9fd, -v138
	v_fmac_f16_e32 v101, 0xb94e, v59
	v_sub_f16_e32 v59, v113, v104
	v_fmamk_f16 v104, v137, 0xb5ac, v139
	v_mul_f16_e32 v113, 0xb5ac, v103
	v_add_f16_e32 v110, v135, v110
	v_add_f16_e32 v91, v106, v91
	;; [unrolled: 1-line block ×4, first 2 shown]
	v_fmamk_f16 v101, v59, 0x3b7b, v113
	v_mul_f16_e32 v104, 0x394e, v134
	v_fma_f16 v106, v137, 0xb5ac, -v139
	v_fmac_f16_e32 v113, 0xbb7b, v59
	v_mul_f16_e32 v135, 0xb9fd, v103
	v_add_f16_e32 v60, v101, v60
	v_fmamk_f16 v101, v137, 0xb9fd, v104
	v_add_f16_e32 v102, v106, v102
	v_add_f16_e32 v106, v113, v108
	v_fmamk_f16 v108, v59, 0xb94e, v135
	v_mul_f16_e32 v113, 0x3770, v134
	v_fma_f16 v104, v137, 0xb9fd, -v104
	v_fmac_f16_e32 v135, 0x394e, v59
	v_add_f16_e32 v101, v101, v107
	v_add_f16_e32 v107, v108, v109
	v_fmamk_f16 v108, v137, 0x3b15, v113
	v_mul_f16_e32 v109, 0x3b15, v103
	v_add_f16_e32 v97, v104, v97
	v_add_f16_e32 v104, v135, v111
	v_mul_f16_e32 v111, 0xbbf1, v134
	v_add_f16_e32 v108, v108, v112
	v_fmamk_f16 v112, v59, 0xb770, v109
	v_fma_f16 v113, v137, 0x3b15, -v113
	v_fmac_f16_e32 v109, 0x3770, v59
	v_fmamk_f16 v135, v137, 0x2fb7, v111
	v_mul_f16_e32 v138, 0x2fb7, v103
	v_add_f16_e32 v112, v112, v128
	v_add_f16_e32 v113, v113, v124
	;; [unrolled: 1-line block ×4, first 2 shown]
	v_fmamk_f16 v125, v59, 0x3bf1, v138
	v_mul_f16_e32 v126, 0x33a8, v134
	v_fma_f16 v111, v137, 0x2fb7, -v111
	v_mul_f16_e32 v128, 0xbbc4, v103
	v_mul_f16_e32 v134, 0x3a95, v134
	v_add_f16_e32 v125, v125, v129
	v_fmamk_f16 v129, v137, 0xbbc4, v126
	v_add_f16_e32 v111, v111, v122
	v_fmamk_f16 v122, v59, 0xb3a8, v128
	v_fma_f16 v126, v137, 0xbbc4, -v126
	v_fmac_f16_e32 v128, 0x33a8, v59
	v_add_f16_e32 v129, v129, v132
	v_mul_f16_e32 v103, 0x388b, v103
	v_add_f16_e32 v122, v122, v127
	v_fmamk_f16 v127, v137, 0x388b, v134
	v_add_f16_e32 v126, v126, v130
	v_sub_f16_e32 v130, v66, v105
	v_add_f16_e32 v132, v65, v123
	v_add_f16_e32 v66, v66, v105
	;; [unrolled: 1-line block ×3, first 2 shown]
	v_fmac_f16_e32 v138, 0xbbf1, v59
	v_mul_f16_e32 v133, 0xb94e, v130
	v_add_f16_e32 v128, v128, v131
	v_fmamk_f16 v131, v59, 0xba95, v103
	v_fma_f16 v105, v137, 0x388b, -v134
	v_fmac_f16_e32 v103, 0x3a95, v59
	v_sub_f16_e32 v59, v65, v123
	v_fmamk_f16 v65, v132, 0xb9fd, v133
	v_mul_f16_e32 v123, 0xb9fd, v66
	v_add_f16_e32 v110, v131, v110
	v_add_f16_e32 v91, v105, v91
	;; [unrolled: 1-line block ×4, first 2 shown]
	v_fmamk_f16 v65, v59, 0x394e, v123
	v_mul_f16_e32 v103, 0x3bf1, v130
	v_fma_f16 v105, v132, 0xb9fd, -v133
	v_fmac_f16_e32 v123, 0xb94e, v59
	v_mul_f16_e32 v131, 0x2fb7, v66
	v_add_f16_e32 v60, v65, v60
	v_fmamk_f16 v65, v132, 0x2fb7, v103
	v_add_f16_e32 v102, v105, v102
	v_add_f16_e32 v105, v123, v106
	v_fmamk_f16 v106, v59, 0xbbf1, v131
	v_mul_f16_e32 v123, 0xba95, v130
	v_add_f16_e32 v65, v65, v101
	v_fma_f16 v101, v132, 0x2fb7, -v103
	v_fmac_f16_e32 v131, 0x3bf1, v59
	v_add_f16_e32 v103, v106, v107
	v_fmamk_f16 v106, v132, 0x388b, v123
	v_mul_f16_e32 v107, 0x388b, v66
	v_add_f16_e32 v97, v101, v97
	v_add_f16_e32 v101, v131, v104
	v_mul_f16_e32 v104, 0x33a8, v130
	v_add_f16_e32 v106, v106, v108
	v_fmamk_f16 v108, v59, 0x3a95, v107
	v_fma_f16 v123, v132, 0x388b, -v123
	v_mul_f16_e32 v133, 0xbbc4, v66
	v_fmac_f16_e32 v107, 0xba95, v59
	v_fmamk_f16 v131, v132, 0xbbc4, v104
	v_add_f16_e32 v108, v108, v112
	v_add_f16_e32 v112, v123, v113
	v_fmamk_f16 v113, v59, 0xb3a8, v133
	v_mul_f16_e32 v123, 0x3770, v130
	v_add_f16_e32 v107, v107, v109
	v_add_f16_e32 v109, v131, v124
	v_fma_f16 v104, v132, 0xbbc4, -v104
	v_mul_f16_e32 v124, 0x3b15, v66
	v_add_f16_e32 v113, v113, v125
	v_fmamk_f16 v125, v132, 0x3b15, v123
	v_fma_f16 v123, v132, 0x3b15, -v123
	v_add_f16_e32 v104, v104, v111
	v_fmamk_f16 v111, v59, 0xb770, v124
	v_mul_f16_e32 v130, 0xbb7b, v130
	v_fmac_f16_e32 v124, 0x3770, v59
	v_add_f16_e32 v123, v123, v126
	v_sub_f16_e32 v126, v64, v62
	v_add_f16_e32 v125, v125, v129
	v_add_f16_e32 v111, v111, v122
	v_fmamk_f16 v122, v132, 0xb5ac, v130
	v_mul_f16_e32 v66, 0xb5ac, v66
	v_add_f16_e32 v124, v124, v128
	v_add_f16_e32 v128, v63, v61
	v_mul_f16_e32 v129, 0xb3a8, v126
	v_add_f16_e32 v62, v64, v62
	v_fmac_f16_e32 v133, 0x33a8, v59
	v_add_f16_e32 v122, v122, v127
	v_fmamk_f16 v127, v59, 0x3b7b, v66
	v_fmac_f16_e32 v66, 0xbb7b, v59
	v_sub_f16_e32 v59, v63, v61
	v_fmamk_f16 v61, v128, 0xbbc4, v129
	v_mul_f16_e32 v63, 0xbbc4, v62
	v_fma_f16 v64, v132, 0xb5ac, -v130
	v_add_f16_e32 v55, v66, v55
	v_mul_f16_e32 v66, 0x3770, v126
	v_add_f16_e32 v58, v61, v58
	v_fmamk_f16 v61, v59, 0x33a8, v63
	v_add_f16_e32 v110, v127, v110
	v_add_f16_e32 v64, v64, v91
	v_fma_f16 v91, v128, 0xbbc4, -v129
	v_fmac_f16_e32 v63, 0xb3a8, v59
	v_mul_f16_e32 v127, 0x3b15, v62
	v_add_f16_e32 v60, v61, v60
	v_fmamk_f16 v61, v128, 0x3b15, v66
	v_add_f16_e32 v91, v91, v102
	v_add_f16_e32 v63, v63, v105
	v_fmamk_f16 v102, v59, 0xb770, v127
	v_mul_f16_e32 v105, 0xb94e, v126
	v_add_f16_e32 v61, v61, v65
	v_fma_f16 v65, v128, 0x3b15, -v66
	v_fmac_f16_e32 v127, 0x3770, v59
	v_add_f16_e32 v66, v102, v103
	v_fmamk_f16 v102, v128, 0xb9fd, v105
	v_mul_f16_e32 v103, 0xb9fd, v62
	v_add_f16_e32 v65, v65, v97
	v_add_f16_e32 v97, v127, v101
	v_mul_f16_e32 v101, 0x3a95, v126
	v_add_f16_e32 v102, v102, v106
	v_fmamk_f16 v106, v59, 0x394e, v103
	v_fmac_f16_e32 v103, 0xb94e, v59
	v_mul_f16_e32 v129, 0x388b, v62
	v_fmamk_f16 v127, v128, 0x388b, v101
	v_add_f16_e32 v136, v146, v136
	v_add_f16_e32 v106, v106, v108
	;; [unrolled: 1-line block ×3, first 2 shown]
	v_fmamk_f16 v108, v59, 0xba95, v129
	v_add_f16_e32 v107, v127, v109
	v_mul_f16_e32 v109, 0xbb7b, v126
	v_fma_f16 v105, v128, 0xb9fd, -v105
	v_add_f16_e32 v136, v142, v136
	v_add_f16_e32 v108, v108, v113
	v_fma_f16 v101, v128, 0x388b, -v101
	v_fmamk_f16 v113, v128, 0xb5ac, v109
	v_add_f16_e32 v105, v105, v112
	v_mul_f16_e32 v112, 0xb5ac, v62
	v_fma_f16 v109, v128, 0xb5ac, -v109
	v_mul_f16_e32 v62, 0x2fb7, v62
	v_add_f16_e32 v113, v113, v125
	v_mul_f16_e32 v125, 0x3bf1, v126
	v_add_f16_e32 v135, v138, v136
	v_fmamk_f16 v127, v59, 0x3b7b, v112
	v_add_f16_e32 v109, v109, v123
	v_fmac_f16_e32 v112, 0xbb7b, v59
	v_fmamk_f16 v123, v128, 0x2fb7, v125
	v_fmamk_f16 v126, v59, 0xbbf1, v62
	v_fma_f16 v125, v128, 0x2fb7, -v125
	v_fmac_f16_e32 v62, 0x3bf1, v59
	v_add_f16_e32 v131, v133, v135
	v_fmac_f16_e32 v129, 0x3a95, v59
	v_add_f16_e32 v111, v127, v111
	v_pack_b32_f16 v56, v56, v57
	v_pack_b32_f16 v57, v58, v60
	v_add_f16_e32 v59, v112, v124
	v_add_f16_e32 v112, v123, v122
	;; [unrolled: 1-line block ×5, first 2 shown]
	v_pack_b32_f16 v58, v61, v66
	v_pack_b32_f16 v60, v102, v106
	v_add_f16_e32 v101, v101, v104
	v_add_f16_e32 v104, v129, v131
	s_barrier
	buffer_gl0_inv
	ds_write2_b32 v116, v56, v57 offset1:4
	ds_write2_b32 v116, v58, v60 offset0:8 offset1:12
	v_pack_b32_f16 v56, v107, v108
	v_pack_b32_f16 v57, v113, v111
	;; [unrolled: 1-line block ×9, first 2 shown]
	ds_write2_b32 v116, v56, v57 offset0:16 offset1:20
	ds_write2_b32 v116, v58, v55 offset0:24 offset1:28
	;; [unrolled: 1-line block ×4, first 2 shown]
	ds_write_b32 v116, v63 offset:192
	s_and_saveexec_b32 s1, s0
	s_cbranch_execz .LBB0_29
; %bb.28:
	v_mul_f16_sdwa v58, v4, v100 dst_sel:DWORD dst_unused:UNUSED_PAD src0_sel:WORD_1 src1_sel:DWORD
	v_mul_f16_sdwa v55, v11, v121 dst_sel:DWORD dst_unused:UNUSED_PAD src0_sel:WORD_1 src1_sel:DWORD
	;; [unrolled: 1-line block ×5, first 2 shown]
	v_fmac_f16_e32 v58, v4, v48
	v_fmac_f16_e32 v55, v11, v120
	v_mul_f16_sdwa v56, v10, v118 dst_sel:DWORD dst_unused:UNUSED_PAD src0_sel:WORD_1 src1_sel:DWORD
	v_fma_f16 v48, v11, v121, -v57
	v_fma_f16 v59, v4, v100, -v59
	v_mul_f16_sdwa v62, v10, v30 dst_sel:DWORD dst_unused:UNUSED_PAD src0_sel:WORD_1 src1_sel:DWORD
	v_sub_f16_e32 v11, v58, v55
	v_fmac_f16_e32 v60, v5, v53
	v_fmac_f16_e32 v56, v10, v30
	v_mul_f16_sdwa v30, v5, v53 dst_sel:DWORD dst_unused:UNUSED_PAD src0_sel:WORD_1 src1_sel:DWORD
	v_mul_f16_sdwa v61, v6, v99 dst_sel:DWORD dst_unused:UNUSED_PAD src0_sel:WORD_1 src1_sel:DWORD
	;; [unrolled: 1-line block ×3, first 2 shown]
	v_add_f16_e32 v91, v48, v59
	v_mul_f16_e32 v97, 0xb94e, v11
	v_sub_f16_e32 v4, v60, v56
	v_fma_f16 v53, v10, v118, -v62
	v_fma_f16 v63, v5, v98, -v30
	v_fmac_f16_e32 v61, v6, v54
	v_fmac_f16_e32 v57, v9, v29
	v_mul_f16_sdwa v10, v9, v29 dst_sel:DWORD dst_unused:UNUSED_PAD src0_sel:WORD_1 src1_sel:DWORD
	v_mul_f16_sdwa v29, v6, v54 dst_sel:DWORD dst_unused:UNUSED_PAD src0_sel:WORD_1 src1_sel:DWORD
	v_fmamk_f16 v65, v91, 0xb9fd, v97
	v_mul_f16_e32 v98, 0x3bf1, v4
	v_add_f16_e32 v100, v53, v63
	v_sub_f16_e32 v5, v61, v57
	v_fma_f16 v54, v9, v119, -v10
	v_fma_f16 v64, v6, v99, -v29
	v_add_f16_e32 v6, v67, v65
	v_fmamk_f16 v9, v100, 0x2fb7, v98
	v_mul_f16_e32 v99, 0xba95, v5
	v_mul_f16_sdwa v65, v7, v95 dst_sel:DWORD dst_unused:UNUSED_PAD src0_sel:WORD_1 src1_sel:DWORD
	v_add_f16_e32 v101, v54, v64
	v_mul_f16_sdwa v62, v8, v117 dst_sel:DWORD dst_unused:UNUSED_PAD src0_sel:WORD_1 src1_sel:DWORD
	v_add_f16_e32 v6, v9, v6
	v_mul_f16_sdwa v10, v8, v46 dst_sel:DWORD dst_unused:UNUSED_PAD src0_sel:WORD_1 src1_sel:DWORD
	v_fmac_f16_e32 v65, v7, v51
	v_fmamk_f16 v9, v101, 0x388b, v99
	v_fmac_f16_e32 v62, v8, v46
	v_mul_f16_sdwa v29, v7, v51 dst_sel:DWORD dst_unused:UNUSED_PAD src0_sel:WORD_1 src1_sel:DWORD
	v_mul_f16_sdwa v102, v0, v94 dst_sel:DWORD dst_unused:UNUSED_PAD src0_sel:WORD_1 src1_sel:DWORD
	;; [unrolled: 1-line block ×3, first 2 shown]
	v_add_f16_e32 v9, v9, v6
	v_sub_f16_e32 v6, v65, v62
	v_fma_f16 v51, v8, v117, -v10
	v_fma_f16 v95, v7, v95, -v29
	v_fmac_f16_e32 v102, v0, v52
	v_fmac_f16_e32 v66, v3, v45
	v_mul_f16_sdwa v8, v3, v45 dst_sel:DWORD dst_unused:UNUSED_PAD src0_sel:WORD_1 src1_sel:DWORD
	v_mul_f16_sdwa v10, v0, v52 dst_sel:DWORD dst_unused:UNUSED_PAD src0_sel:WORD_1 src1_sel:DWORD
	v_mul_f16_e32 v52, 0x33a8, v6
	v_add_f16_e32 v103, v51, v95
	v_sub_f16_e32 v7, v102, v66
	v_fma_f16 v96, v3, v96, -v8
	v_fma_f16 v94, v0, v94, -v10
	v_sub_f16_e32 v108, v59, v48
	v_fmamk_f16 v0, v103, 0xbbc4, v52
	v_mul_f16_e32 v106, 0x3770, v7
	v_mul_f16_sdwa v104, v1, v92 dst_sel:DWORD dst_unused:UNUSED_PAD src0_sel:WORD_1 src1_sel:DWORD
	v_add_f16_e32 v107, v96, v94
	v_mul_f16_sdwa v105, v2, v93 dst_sel:DWORD dst_unused:UNUSED_PAD src0_sel:WORD_1 src1_sel:DWORD
	v_add_f16_e32 v8, v0, v9
	v_add_f16_e32 v3, v55, v58
	v_mul_f16_e32 v109, 0xb94e, v108
	v_fmamk_f16 v9, v107, 0x3b15, v106
	v_sub_f16_e32 v110, v63, v53
	v_fmac_f16_e32 v104, v1, v49
	v_fmac_f16_e32 v105, v2, v50
	v_mul_f16_sdwa v10, v2, v50 dst_sel:DWORD dst_unused:UNUSED_PAD src0_sel:WORD_1 src1_sel:DWORD
	v_add_f16_e32 v29, v9, v8
	v_fma_f16 v9, v3, 0xb9fd, -v109
	v_add_f16_e32 v8, v56, v60
	v_mul_f16_e32 v112, 0x3bf1, v110
	v_sub_f16_e32 v50, v64, v54
	v_mul_f16_sdwa v30, v1, v49 dst_sel:DWORD dst_unused:UNUSED_PAD src0_sel:WORD_1 src1_sel:DWORD
	v_sub_f16_e32 v0, v104, v105
	v_add_f16_e32 v45, v47, v9
	v_fma_f16 v46, v8, 0x2fb7, -v112
	v_add_f16_e32 v9, v57, v61
	v_mul_f16_e32 v113, 0xba95, v50
	v_fma_f16 v93, v2, v93, -v10
	v_sub_f16_e32 v116, v95, v51
	v_fma_f16 v92, v1, v92, -v30
	v_mul_f16_e32 v111, 0xbb7b, v0
	v_add_f16_e32 v1, v46, v45
	v_fma_f16 v10, v9, 0x388b, -v113
	v_add_f16_e32 v2, v62, v65
	v_mul_f16_e32 v117, 0x33a8, v116
	v_add_f16_e32 v118, v93, v92
	v_sub_f16_e32 v119, v94, v96
	v_mul_f16_e32 v45, 0xb3a8, v11
	v_add_f16_e32 v1, v10, v1
	v_fma_f16 v30, v2, 0xbbc4, -v117
	v_add_f16_e32 v10, v66, v102
	v_mul_f16_e32 v120, 0x3770, v119
	v_fmamk_f16 v46, v91, 0xbbc4, v45
	v_mul_f16_e32 v49, 0x3770, v4
	v_fmamk_f16 v121, v118, 0xb5ac, v111
	v_add_f16_e32 v30, v30, v1
	v_fma_f16 v122, v10, 0x3b15, -v120
	v_add_f16_e32 v46, v67, v46
	v_fmamk_f16 v123, v100, 0x3b15, v49
	v_mul_f16_e32 v124, 0xb94e, v5
	v_add_f16_e32 v1, v121, v29
	v_sub_f16_e32 v121, v92, v93
	v_add_f16_e32 v30, v122, v30
	v_add_f16_e32 v46, v123, v46
	v_fmamk_f16 v122, v101, 0xb9fd, v124
	v_mul_f16_e32 v123, 0x3a95, v6
	v_add_f16_e32 v29, v105, v104
	v_mul_f16_e32 v125, 0xbb7b, v121
	v_mul_f16_e32 v126, 0xb3a8, v108
	v_add_f16_e32 v46, v122, v46
	v_fmamk_f16 v122, v103, 0x388b, v123
	v_mul_f16_e32 v127, 0xbb7b, v7
	v_fma_f16 v128, v29, 0xb5ac, -v125
	v_fma_f16 v129, v3, 0xbbc4, -v126
	v_mul_f16_e32 v130, 0x3770, v110
	v_add_f16_e32 v46, v122, v46
	v_fmamk_f16 v122, v107, 0xb5ac, v127
	v_add_f16_e32 v30, v128, v30
	v_add_f16_e32 v128, v47, v129
	v_fma_f16 v129, v8, 0x3b15, -v130
	v_mul_f16_e32 v131, 0xb94e, v50
	v_add_f16_e32 v46, v122, v46
	v_mul_f16_e32 v122, 0x3bf1, v0
	v_fma_f16 v45, v91, 0xbbc4, -v45
	v_add_f16_e32 v128, v129, v128
	v_fma_f16 v129, v9, 0xb9fd, -v131
	v_mul_f16_e32 v132, 0x3a95, v116
	v_fmamk_f16 v133, v118, 0x2fb7, v122
	v_add_f16_e32 v134, v67, v45
	v_fma_f16 v49, v100, 0x3b15, -v49
	v_add_f16_e32 v128, v129, v128
	v_fma_f16 v129, v2, 0x388b, -v132
	v_mul_f16_e32 v135, 0xbb7b, v119
	v_add_f16_e32 v45, v133, v46
	v_add_f16_e32 v46, v49, v134
	v_fma_f16 v49, v101, 0xb9fd, -v124
	v_add_f16_e32 v124, v129, v128
	v_fma_f16 v128, v10, 0xb5ac, -v135
	v_mul_f16_e32 v129, 0x3bf1, v121
	v_fmac_f16_e32 v126, 0xbbc4, v3
	v_fma_f16 v97, v91, 0xb9fd, -v97
	v_add_f16_e32 v46, v49, v46
	v_fma_f16 v49, v103, 0x388b, -v123
	v_add_f16_e32 v123, v128, v124
	;; [unrolled: 2-line block ×3, first 2 shown]
	v_fmac_f16_e32 v130, 0x3b15, v8
	v_add_f16_e32 v97, v67, v97
	v_fma_f16 v98, v100, 0x2fb7, -v98
	v_add_f16_e32 v49, v49, v46
	v_add_f16_e32 v46, v124, v123
	;; [unrolled: 1-line block ×3, first 2 shown]
	v_fmac_f16_e32 v131, 0xb9fd, v9
	v_add_f16_e32 v97, v98, v97
	v_fma_f16 v98, v101, 0x388b, -v99
	v_fmac_f16_e32 v132, 0x388b, v2
	v_fmac_f16_e32 v109, 0xb9fd, v3
	v_add_f16_e32 v123, v131, v123
	v_fma_f16 v52, v103, 0xbbc4, -v52
	v_add_f16_e32 v97, v98, v97
	v_fmac_f16_e32 v135, 0xb5ac, v10
	v_add_f16_e32 v109, v47, v109
	v_add_f16_e32 v99, v132, v123
	v_fmac_f16_e32 v112, 0x2fb7, v8
	v_add_f16_e32 v52, v52, v97
	v_fma_f16 v97, v107, 0x3b15, -v106
	v_mul_f16_e32 v106, 0xb5ac, v91
	v_add_f16_e32 v98, v135, v99
	v_add_f16_e32 v99, v112, v109
	v_fmac_f16_e32 v113, 0x388b, v9
	v_add_f16_e32 v52, v97, v52
	v_fmamk_f16 v97, v11, 0x3b7b, v106
	v_mul_f16_e32 v109, 0xb9fd, v100
	v_add_f16_e32 v58, v47, v58
	v_fma_f16 v127, v107, 0xb5ac, -v127
	v_add_f16_e32 v99, v113, v99
	v_fmac_f16_e32 v117, 0xbbc4, v2
	v_fma_f16 v111, v118, 0xb5ac, -v111
	v_add_f16_e32 v97, v67, v97
	v_fmamk_f16 v112, v4, 0xb94e, v109
	v_mul_f16_e32 v113, 0x3b15, v101
	v_add_f16_e32 v58, v60, v58
	v_add_f16_e32 v59, v59, v67
	;; [unrolled: 1-line block ×3, first 2 shown]
	v_fma_f16 v122, v118, 0x2fb7, -v122
	v_add_f16_e32 v99, v117, v99
	v_fmac_f16_e32 v120, 0x3b15, v10
	v_add_f16_e32 v52, v111, v52
	v_mul_f16_e32 v111, 0xbb7b, v108
	v_add_f16_e32 v97, v112, v97
	v_fmamk_f16 v112, v5, 0xb770, v113
	v_mul_f16_e32 v117, 0x2fb7, v103
	v_mul_f16_e32 v60, 0xb770, v108
	v_add_f16_e32 v58, v61, v58
	v_add_f16_e32 v59, v63, v59
	;; [unrolled: 1-line block ×4, first 2 shown]
	v_fmamk_f16 v120, v3, 0xb5ac, v111
	v_mul_f16_e32 v122, 0x394e, v110
	v_add_f16_e32 v97, v112, v97
	v_fmamk_f16 v112, v6, 0x3bf1, v117
	v_mul_f16_e32 v123, 0xbbc4, v107
	v_fmamk_f16 v61, v3, 0x3b15, v60
	v_mul_f16_e32 v63, 0xba95, v110
	v_add_f16_e32 v58, v65, v58
	v_add_f16_e32 v59, v64, v59
	v_fmac_f16_e32 v125, 0xb5ac, v29
	v_add_f16_e32 v120, v47, v120
	v_fmamk_f16 v124, v8, 0xb9fd, v122
	v_mul_f16_e32 v126, 0x3770, v50
	v_add_f16_e32 v97, v112, v97
	v_fmamk_f16 v112, v7, 0xb3a8, v123
	v_mul_f16_e32 v140, 0x3b7b, v50
	v_mul_f16_e32 v153, 0xb3a8, v50
	v_add_f16_e32 v61, v47, v61
	v_fmamk_f16 v64, v8, 0x388b, v63
	v_mul_f16_e32 v50, 0xbbf1, v50
	v_add_f16_e32 v58, v102, v58
	v_add_f16_e32 v59, v95, v59
	v_fmac_f16_e32 v129, 0x2fb7, v29
	v_add_f16_e32 v99, v125, v99
	v_add_f16_e32 v120, v124, v120
	v_fmamk_f16 v124, v9, 0x3b15, v126
	v_mul_f16_e32 v125, 0xbbf1, v116
	v_add_f16_e32 v97, v112, v97
	v_mul_f16_e32 v112, 0x388b, v118
	v_mul_f16_e32 v127, 0x2fb7, v91
	v_add_f16_e32 v61, v64, v61
	v_fmamk_f16 v64, v9, 0x2fb7, v50
	v_add_f16_e32 v58, v104, v58
	v_add_f16_e32 v59, v94, v59
	v_mul_f16_e32 v94, 0xbb7b, v116
	v_add_f16_e32 v98, v129, v98
	v_add_f16_e32 v120, v124, v120
	v_fmamk_f16 v124, v2, 0x2fb7, v125
	v_mul_f16_e32 v128, 0x33a8, v119
	v_fmamk_f16 v129, v0, 0xba95, v112
	v_fmamk_f16 v130, v11, 0x3bf1, v127
	v_mul_f16_e32 v131, 0xbbc4, v100
	v_add_f16_e32 v61, v64, v61
	v_add_f16_e32 v58, v105, v58
	;; [unrolled: 1-line block ×3, first 2 shown]
	v_fmamk_f16 v64, v2, 0xb5ac, v94
	v_mul_f16_e32 v92, 0xb94e, v119
	v_add_f16_e32 v120, v124, v120
	v_fmamk_f16 v124, v10, 0xbbc4, v128
	v_add_f16_e32 v97, v129, v97
	v_add_f16_e32 v129, v67, v130
	v_fmamk_f16 v130, v4, 0x33a8, v131
	v_mul_f16_e32 v132, 0xb5ac, v101
	v_mul_f16_e32 v133, 0xbbf1, v108
	v_add_f16_e32 v58, v66, v58
	v_add_f16_e32 v59, v93, v59
	;; [unrolled: 1-line block ×3, first 2 shown]
	v_fmamk_f16 v64, v10, 0xb9fd, v92
	v_mul_f16_e32 v66, 0xb3a8, v121
	v_add_f16_e32 v120, v124, v120
	v_mul_f16_e32 v124, 0x3a95, v121
	v_add_f16_e32 v129, v130, v129
	v_fmamk_f16 v130, v5, 0xbb7b, v132
	v_mul_f16_e32 v134, 0x3b15, v103
	v_fmamk_f16 v136, v3, 0x2fb7, v133
	v_mul_f16_e32 v137, 0xb3a8, v110
	v_add_f16_e32 v58, v62, v58
	v_add_f16_e32 v59, v96, v59
	v_fmac_f16_e32 v106, 0xbb7b, v11
	v_add_f16_e32 v61, v64, v61
	v_fmamk_f16 v62, v29, 0xbbc4, v66
	v_fmamk_f16 v135, v29, 0x388b, v124
	v_add_f16_e32 v129, v130, v129
	v_fmamk_f16 v130, v6, 0xb770, v134
	v_mul_f16_e32 v138, 0x388b, v107
	v_add_f16_e32 v136, v47, v136
	v_fmamk_f16 v139, v8, 0xbbc4, v137
	v_add_f16_e32 v57, v57, v58
	v_add_f16_e32 v51, v51, v59
	;; [unrolled: 1-line block ×3, first 2 shown]
	v_fmac_f16_e32 v109, 0x394e, v4
	v_add_f16_e32 v59, v62, v61
	v_fma_f16 v61, v3, 0xb5ac, -v111
	v_add_f16_e32 v129, v130, v129
	v_fmamk_f16 v130, v7, 0x3a95, v138
	v_add_f16_e32 v120, v135, v120
	v_add_f16_e32 v135, v139, v136
	v_fmamk_f16 v136, v9, 0xb5ac, v140
	v_mul_f16_e32 v139, 0x3770, v116
	v_add_f16_e32 v56, v56, v57
	v_add_f16_e32 v51, v54, v51
	;; [unrolled: 1-line block ×3, first 2 shown]
	v_fmac_f16_e32 v113, 0x3770, v5
	v_add_f16_e32 v57, v47, v61
	v_fma_f16 v58, v8, 0xb9fd, -v122
	v_add_f16_e32 v129, v130, v129
	v_mul_f16_e32 v130, 0x388b, v91
	v_add_f16_e32 v135, v136, v135
	v_fmamk_f16 v136, v2, 0x3b15, v139
	v_mul_f16_e32 v142, 0xba95, v119
	v_add_f16_e32 v55, v55, v56
	v_add_f16_e32 v51, v53, v51
	v_add_f16_e32 v53, v113, v54
	v_fmac_f16_e32 v117, 0xbbf1, v6
	v_add_f16_e32 v54, v58, v57
	v_fma_f16 v56, v9, 0x3b15, -v126
	v_fmac_f16_e32 v127, 0xbbf1, v11
	v_mul_f16_e32 v141, 0xb9fd, v118
	v_fmamk_f16 v143, v11, 0x3a95, v130
	v_mul_f16_e32 v144, 0xb5ac, v100
	v_add_f16_e32 v135, v136, v135
	v_fmamk_f16 v136, v10, 0x388b, v142
	v_add_f16_e32 v48, v48, v51
	v_add_f16_e32 v51, v117, v53
	;; [unrolled: 1-line block ×3, first 2 shown]
	v_fma_f16 v54, v2, 0x2fb7, -v125
	v_add_f16_e32 v56, v67, v127
	v_fmac_f16_e32 v131, 0xb3a8, v4
	v_fmamk_f16 v145, v0, 0x394e, v141
	v_add_f16_e32 v143, v67, v143
	v_fmamk_f16 v146, v4, 0x3b7b, v144
	v_mul_f16_e32 v147, 0xbbc4, v101
	v_add_f16_e32 v135, v136, v135
	v_mul_f16_e32 v136, 0xba95, v108
	v_add_f16_e32 v53, v54, v53
	v_fma_f16 v54, v10, 0xbbc4, -v128
	v_add_f16_e32 v56, v131, v56
	v_fmac_f16_e32 v132, 0x3b7b, v5
	v_fma_f16 v57, v3, 0x2fb7, -v133
	v_add_f16_e32 v129, v145, v129
	v_add_f16_e32 v143, v146, v143
	v_fmamk_f16 v145, v5, 0x33a8, v147
	v_mul_f16_e32 v146, 0xb9fd, v103
	v_fmamk_f16 v149, v3, 0x388b, v136
	v_mul_f16_e32 v150, 0xbb7b, v110
	v_add_f16_e32 v53, v54, v53
	v_fma_f16 v54, v29, 0x388b, -v124
	v_add_f16_e32 v56, v132, v56
	v_fmac_f16_e32 v134, 0x3770, v6
	v_add_f16_e32 v57, v47, v57
	v_fma_f16 v58, v8, 0xbbc4, -v137
	v_fmac_f16_e32 v130, 0xba95, v11
	v_add_f16_e32 v143, v145, v143
	v_fmamk_f16 v145, v6, 0xb94e, v146
	v_mul_f16_e32 v151, 0x2fb7, v107
	v_add_f16_e32 v149, v47, v149
	v_fmamk_f16 v152, v8, 0xb5ac, v150
	v_add_f16_e32 v53, v54, v53
	v_add_f16_e32 v54, v134, v56
	;; [unrolled: 1-line block ×3, first 2 shown]
	v_fma_f16 v57, v9, 0xb5ac, -v140
	v_add_f16_e32 v58, v67, v130
	v_fmac_f16_e32 v144, 0xbb7b, v4
	v_add_f16_e32 v143, v145, v143
	v_fmamk_f16 v145, v7, 0xbbf1, v151
	v_add_f16_e32 v149, v152, v149
	v_fmamk_f16 v152, v9, 0xbbc4, v153
	v_mul_f16_e32 v155, 0x394e, v116
	v_mul_f16_e32 v91, 0x3b15, v91
	v_add_f16_e32 v56, v57, v56
	v_fma_f16 v57, v2, 0x3b15, -v139
	v_add_f16_e32 v58, v144, v58
	v_fmac_f16_e32 v147, 0xb3a8, v5
	v_add_f16_e32 v143, v145, v143
	v_add_f16_e32 v145, v152, v149
	v_fmamk_f16 v149, v2, 0xb9fd, v155
	v_mul_f16_e32 v152, 0x3bf1, v119
	v_fmamk_f16 v156, v11, 0x3770, v91
	v_mul_f16_e32 v100, 0x388b, v100
	v_fma_f16 v61, v3, 0x388b, -v136
	v_mul_f16_e32 v148, 0xb94e, v121
	v_add_f16_e32 v56, v57, v56
	v_fma_f16 v57, v10, 0x388b, -v142
	v_add_f16_e32 v58, v147, v58
	v_fmac_f16_e32 v146, 0x394e, v6
	v_add_f16_e32 v145, v149, v145
	v_fmamk_f16 v149, v10, 0x2fb7, v152
	v_mul_f16_e32 v157, 0x3770, v121
	v_add_f16_e32 v156, v67, v156
	v_fmamk_f16 v158, v4, 0x3a95, v100
	v_mul_f16_e32 v101, 0x2fb7, v101
	v_add_f16_e32 v61, v47, v61
	v_fma_f16 v62, v8, 0xb5ac, -v150
	v_add_f16_e32 v56, v57, v56
	v_fma_f16 v57, v29, 0xb9fd, -v148
	v_add_f16_e32 v58, v146, v58
	v_fmac_f16_e32 v151, 0x3bf1, v7
	v_fmac_f16_e32 v91, 0xb770, v11
	v_fma_f16 v3, v3, 0x3b15, -v60
	v_add_f16_e32 v145, v149, v145
	v_fmamk_f16 v149, v29, 0x3b15, v157
	v_add_f16_e32 v156, v158, v156
	v_fmamk_f16 v158, v5, 0x3bf1, v101
	v_mul_f16_e32 v103, 0xb5ac, v103
	v_add_f16_e32 v61, v62, v61
	v_fma_f16 v62, v9, 0xbbc4, -v153
	v_add_f16_e32 v11, v57, v56
	v_add_f16_e32 v56, v151, v58
	;; [unrolled: 1-line block ×3, first 2 shown]
	v_fmac_f16_e32 v100, 0xba95, v4
	v_add_f16_e32 v3, v47, v3
	v_fma_f16 v8, v8, 0x388b, -v63
	v_add_f16_e32 v145, v149, v145
	v_add_f16_e32 v149, v158, v156
	v_fmamk_f16 v156, v6, 0x3b7b, v103
	v_mul_f16_e32 v107, 0xb9fd, v107
	v_add_f16_e32 v57, v62, v61
	v_fma_f16 v4, v2, 0xb9fd, -v155
	v_fmamk_f16 v154, v29, 0xb9fd, v148
	v_add_f16_e32 v47, v100, v58
	v_fmac_f16_e32 v101, 0xbbf1, v5
	v_add_f16_e32 v3, v8, v3
	v_fma_f16 v5, v9, 0x2fb7, -v50
	v_add_f16_e32 v108, v156, v149
	v_fmamk_f16 v149, v7, 0x394e, v107
	v_mul_f16_e32 v65, 0xbbc4, v118
	v_add_f16_e32 v4, v4, v57
	v_fma_f16 v8, v10, 0x2fb7, -v152
	v_add_f16_e32 v135, v154, v135
	v_mul_f16_e32 v154, 0x3b15, v118
	v_add_f16_e32 v9, v101, v47
	v_fmac_f16_e32 v103, 0xbb7b, v6
	v_add_f16_e32 v3, v5, v3
	v_fma_f16 v2, v2, 0xb5ac, -v94
	v_add_f16_e32 v108, v149, v108
	v_fmamk_f16 v95, v0, 0x33a8, v65
	v_add_f16_e32 v4, v8, v4
	v_mul_u32_u24_e32 v8, 52, v114
	v_fmamk_f16 v159, v0, 0xb770, v154
	v_fmac_f16_e32 v123, 0x33a8, v7
	v_fmac_f16_e32 v138, 0xba95, v7
	v_add_f16_e32 v5, v103, v9
	v_fmac_f16_e32 v107, 0xb94e, v7
	v_add_f16_e32 v2, v2, v3
	v_fma_f16 v3, v10, 0xb9fd, -v92
	v_add_f16_e32 v95, v95, v108
	v_or_b32_e32 v8, v8, v90
	v_add_f16_e32 v143, v159, v143
	v_add_f16_e32 v51, v123, v51
	v_fmac_f16_e32 v112, 0x3a95, v0
	v_add_f16_e32 v54, v138, v54
	v_fmac_f16_e32 v141, 0xb94e, v0
	v_fmac_f16_e32 v154, 0x3770, v0
	v_fma_f16 v7, v29, 0x3b15, -v157
	v_add_f16_e32 v5, v107, v5
	v_fmac_f16_e32 v65, 0xb3a8, v0
	v_add_f16_e32 v0, v3, v2
	v_fma_f16 v2, v29, 0xbbc4, -v66
	v_lshlrev_b32_e32 v3, 2, v8
	v_pack_b32_f16 v8, v55, v48
	v_pack_b32_f16 v9, v59, v95
	v_add_f16_e32 v51, v112, v51
	v_pack_b32_f16 v10, v145, v143
	v_pack_b32_f16 v29, v135, v129
	v_add_f16_e32 v54, v141, v54
	v_add_f16_e32 v6, v154, v56
	;; [unrolled: 1-line block ×5, first 2 shown]
	v_pack_b32_f16 v2, v120, v97
	v_pack_b32_f16 v7, v99, v52
	ds_write2_b32 v3, v8, v9 offset1:4
	ds_write2_b32 v3, v10, v29 offset0:8 offset1:12
	v_pack_b32_f16 v8, v98, v49
	v_pack_b32_f16 v9, v46, v45
	;; [unrolled: 1-line block ×7, first 2 shown]
	ds_write2_b32 v3, v2, v7 offset0:16 offset1:20
	ds_write2_b32 v3, v8, v9 offset0:24 offset1:28
	;; [unrolled: 1-line block ×4, first 2 shown]
	ds_write_b32 v3, v0 offset:192
.LBB0_29:
	s_or_b32 exec_lo, exec_lo, s1
	v_add_nc_u32_e32 v1, 0x400, v68
	s_waitcnt lgkmcnt(0)
	s_barrier
	buffer_gl0_inv
	ds_read2_b32 v[5:6], v68 offset0:104 offset1:156
	ds_read2_b32 v[7:8], v1 offset0:56 offset1:108
	v_add_nc_u32_e32 v4, 0x800, v68
	v_add_nc_u32_e32 v2, 0xa00, v68
	;; [unrolled: 1-line block ×4, first 2 shown]
	ds_read2_b32 v[9:10], v1 offset0:160 offset1:212
	ds_read2_b32 v[29:30], v4 offset0:112 offset1:164
	;; [unrolled: 1-line block ×7, first 2 shown]
	ds_read_b32 v11, v68 offset:4160
	ds_read2_b32 v[55:56], v68 offset1:52
	s_waitcnt lgkmcnt(0)
	s_barrier
	buffer_gl0_inv
	s_mov_b32 s4, 0x1e01e01e
	s_mov_b32 s5, 0x3f4e01e0
	v_lshrrev_b32_e32 v59, 16, v10
	v_lshrrev_b32_e32 v60, 16, v29
	v_lshrrev_b32_e32 v57, 16, v6
	v_lshrrev_b32_e32 v58, 16, v7
	v_lshrrev_b32_e32 v61, 16, v46
	v_lshrrev_b32_e32 v62, 16, v47
	v_mul_f16_sdwa v99, v13, v7 dst_sel:DWORD dst_unused:UNUSED_PAD src0_sel:WORD_1 src1_sel:DWORD
	v_mul_f16_sdwa v93, v12, v57 dst_sel:DWORD dst_unused:UNUSED_PAD src0_sel:WORD_1 src1_sel:DWORD
	;; [unrolled: 1-line block ×5, first 2 shown]
	v_lshrrev_b32_e32 v63, 16, v49
	v_fmac_f16_e32 v93, v12, v6
	v_mul_f16_sdwa v6, v12, v6 dst_sel:DWORD dst_unused:UNUSED_PAD src0_sel:WORD_1 src1_sel:DWORD
	v_lshrrev_b32_e32 v64, 16, v8
	v_fmac_f16_e32 v98, v13, v7
	v_fma_f16 v7, v13, v58, -v99
	v_fmac_f16_e32 v100, v14, v10
	v_fma_f16 v6, v12, v57, -v6
	v_fma_f16 v10, v14, v59, -v101
	v_mul_f16_sdwa v57, v15, v60 dst_sel:DWORD dst_unused:UNUSED_PAD src0_sel:WORD_1 src1_sel:DWORD
	v_mul_f16_sdwa v58, v15, v29 dst_sel:DWORD dst_unused:UNUSED_PAD src0_sel:WORD_1 src1_sel:DWORD
	;; [unrolled: 1-line block ×5, first 2 shown]
	v_lshrrev_b32_e32 v65, 16, v51
	v_lshrrev_b32_e32 v66, 16, v30
	;; [unrolled: 1-line block ×3, first 2 shown]
	v_fmac_f16_e32 v57, v15, v29
	v_fma_f16 v29, v15, v60, -v58
	v_fmac_f16_e32 v59, v25, v46
	v_fma_f16 v46, v25, v61, -v99
	v_fmac_f16_e32 v101, v26, v47
	v_mul_f16_sdwa v47, v26, v47 dst_sel:DWORD dst_unused:UNUSED_PAD src0_sel:WORD_1 src1_sel:DWORD
	v_mul_f16_sdwa v58, v12, v63 dst_sel:DWORD dst_unused:UNUSED_PAD src0_sel:WORD_1 src1_sel:DWORD
	;; [unrolled: 1-line block ×5, first 2 shown]
	v_lshrrev_b32_e32 v90, 16, v48
	v_lshrrev_b32_e32 v91, 16, v50
	v_fma_f16 v47, v26, v62, -v47
	v_fmac_f16_e32 v58, v12, v49
	v_fma_f16 v12, v12, v63, -v60
	v_fmac_f16_e32 v61, v13, v8
	v_fma_f16 v8, v13, v64, -v99
	v_mul_f16_sdwa v13, v14, v65 dst_sel:DWORD dst_unused:UNUSED_PAD src0_sel:WORD_1 src1_sel:DWORD
	v_mul_f16_sdwa v49, v14, v51 dst_sel:DWORD dst_unused:UNUSED_PAD src0_sel:WORD_1 src1_sel:DWORD
	v_mul_f16_sdwa v60, v15, v66 dst_sel:DWORD dst_unused:UNUSED_PAD src0_sel:WORD_1 src1_sel:DWORD
	v_mul_f16_sdwa v62, v15, v30 dst_sel:DWORD dst_unused:UNUSED_PAD src0_sel:WORD_1 src1_sel:DWORD
	v_mul_f16_sdwa v63, v25, v67 dst_sel:DWORD dst_unused:UNUSED_PAD src0_sel:WORD_1 src1_sel:DWORD
	v_lshrrev_b32_e32 v92, 16, v9
	v_lshrrev_b32_e32 v94, 16, v52
	;; [unrolled: 1-line block ×3, first 2 shown]
	v_fmac_f16_e32 v13, v14, v51
	v_fma_f16 v14, v14, v65, -v49
	v_fmac_f16_e32 v60, v15, v30
	v_fma_f16 v15, v15, v66, -v62
	v_fmac_f16_e32 v63, v25, v53
	v_mul_f16_sdwa v30, v25, v53 dst_sel:DWORD dst_unused:UNUSED_PAD src0_sel:WORD_1 src1_sel:DWORD
	v_mul_f16_sdwa v49, v26, v90 dst_sel:DWORD dst_unused:UNUSED_PAD src0_sel:WORD_1 src1_sel:DWORD
	;; [unrolled: 1-line block ×5, first 2 shown]
	v_lshrrev_b32_e32 v96, 16, v54
	v_lshrrev_b32_e32 v97, 16, v11
	v_fma_f16 v25, v25, v67, -v30
	v_fmac_f16_e32 v49, v26, v48
	v_fma_f16 v26, v26, v90, -v51
	v_fmac_f16_e32 v53, v16, v50
	v_fma_f16 v16, v16, v91, -v62
	v_mul_f16_sdwa v30, v17, v92 dst_sel:DWORD dst_unused:UNUSED_PAD src0_sel:WORD_1 src1_sel:DWORD
	v_mul_f16_sdwa v48, v17, v9 dst_sel:DWORD dst_unused:UNUSED_PAD src0_sel:WORD_1 src1_sel:DWORD
	;; [unrolled: 1-line block ×5, first 2 shown]
	v_fmac_f16_e32 v30, v17, v9
	v_fma_f16 v9, v17, v92, -v48
	v_fmac_f16_e32 v50, v18, v52
	v_fma_f16 v17, v18, v94, -v51
	v_fmac_f16_e32 v62, v19, v45
	v_mul_f16_sdwa v18, v19, v45 dst_sel:DWORD dst_unused:UNUSED_PAD src0_sel:WORD_1 src1_sel:DWORD
	v_mul_f16_sdwa v45, v27, v96 dst_sel:DWORD dst_unused:UNUSED_PAD src0_sel:WORD_1 src1_sel:DWORD
	v_mul_f16_sdwa v48, v27, v54 dst_sel:DWORD dst_unused:UNUSED_PAD src0_sel:WORD_1 src1_sel:DWORD
	v_mul_f16_sdwa v51, v28, v97 dst_sel:DWORD dst_unused:UNUSED_PAD src0_sel:WORD_1 src1_sel:DWORD
	v_mul_f16_sdwa v52, v28, v11 dst_sel:DWORD dst_unused:UNUSED_PAD src0_sel:WORD_1 src1_sel:DWORD
	v_fma_f16 v18, v19, v95, -v18
	v_fmac_f16_e32 v45, v27, v54
	v_fma_f16 v19, v27, v96, -v48
	v_fmac_f16_e32 v51, v28, v11
	v_fma_f16 v11, v28, v97, -v52
	v_add_f16_e32 v27, v93, v101
	v_add_f16_e32 v28, v6, v47
	v_sub_f16_e32 v6, v6, v47
	v_add_f16_e32 v47, v98, v59
	v_add_f16_e32 v52, v7, v46
	v_sub_f16_e32 v48, v93, v101
	v_sub_f16_e32 v54, v98, v59
	;; [unrolled: 1-line block ×3, first 2 shown]
	v_add_f16_e32 v46, v100, v57
	v_add_f16_e32 v59, v10, v29
	v_sub_f16_e32 v57, v57, v100
	v_sub_f16_e32 v10, v29, v10
	v_add_f16_e32 v29, v47, v27
	v_add_f16_e32 v64, v52, v28
	v_sub_f16_e32 v65, v47, v27
	v_sub_f16_e32 v66, v52, v28
	;; [unrolled: 1-line block ×6, first 2 shown]
	v_add_f16_e32 v67, v57, v54
	v_add_f16_e32 v90, v10, v7
	v_sub_f16_e32 v91, v57, v54
	v_sub_f16_e32 v92, v10, v7
	;; [unrolled: 1-line block ×3, first 2 shown]
	v_add_f16_e32 v29, v46, v29
	v_add_f16_e32 v46, v59, v64
	v_sub_f16_e32 v7, v7, v6
	v_sub_f16_e32 v57, v48, v57
	;; [unrolled: 1-line block ×3, first 2 shown]
	v_add_f16_e32 v48, v67, v48
	v_add_f16_e32 v6, v90, v6
	;; [unrolled: 1-line block ×3, first 2 shown]
	v_add_f16_sdwa v55, v55, v46 dst_sel:DWORD dst_unused:UNUSED_PAD src0_sel:WORD_1 src1_sel:DWORD
	v_mul_f16_e32 v27, 0x3a52, v27
	v_mul_f16_e32 v28, 0x3a52, v28
	;; [unrolled: 1-line block ×8, first 2 shown]
	v_fmamk_f16 v29, v29, 0xbcab, v59
	v_fmamk_f16 v46, v46, 0xbcab, v55
	;; [unrolled: 1-line block ×4, first 2 shown]
	v_fma_f16 v64, v65, 0x39e0, -v64
	v_fma_f16 v67, v66, 0x39e0, -v67
	;; [unrolled: 1-line block ×4, first 2 shown]
	v_fmamk_f16 v65, v57, 0xb574, v90
	v_fmamk_f16 v66, v10, 0xb574, v91
	v_fma_f16 v57, v57, 0x3574, -v92
	v_fma_f16 v10, v10, 0x3574, -v93
	;; [unrolled: 1-line block ×4, first 2 shown]
	v_add_f16_e32 v47, v47, v29
	v_add_f16_e32 v52, v52, v46
	;; [unrolled: 1-line block ×4, first 2 shown]
	v_fmac_f16_e32 v65, 0xb70e, v48
	v_fmac_f16_e32 v66, 0xb70e, v6
	v_fmac_f16_e32 v10, 0xb70e, v6
	v_fmac_f16_e32 v57, 0xb70e, v48
	v_add_f16_e32 v64, v64, v29
	v_add_f16_e32 v67, v67, v46
	v_fmac_f16_e32 v54, 0xb70e, v48
	v_fmac_f16_e32 v7, 0xb70e, v6
	v_add_f16_e32 v6, v66, v47
	v_sub_f16_e32 v29, v52, v65
	v_add_f16_e32 v46, v10, v27
	v_sub_f16_e32 v48, v28, v57
	v_sub_f16_e32 v10, v27, v10
	v_add_f16_e32 v27, v57, v28
	v_sub_f16_e32 v28, v47, v66
	v_add_f16_e32 v47, v65, v52
	v_add_f16_e32 v52, v58, v49
	v_add_f16_e32 v57, v12, v26
	v_sub_f16_e32 v49, v58, v49
	v_sub_f16_e32 v12, v12, v26
	v_add_f16_e32 v26, v61, v63
	v_add_f16_e32 v58, v8, v25
	v_sub_f16_e32 v61, v61, v63
	v_sub_f16_e32 v8, v8, v25
	v_add_f16_e32 v25, v13, v60
	v_add_f16_e32 v63, v14, v15
	;; [unrolled: 4-line block ×3, first 2 shown]
	v_sub_f16_e32 v90, v64, v7
	v_add_f16_e32 v91, v54, v67
	v_add_f16_e32 v7, v7, v64
	v_sub_f16_e32 v54, v67, v54
	v_sub_f16_e32 v64, v26, v52
	;; [unrolled: 1-line block ×7, first 2 shown]
	v_add_f16_e32 v66, v13, v61
	v_add_f16_e32 v67, v14, v8
	v_sub_f16_e32 v92, v13, v61
	v_sub_f16_e32 v93, v14, v8
	;; [unrolled: 1-line block ×3, first 2 shown]
	v_add_f16_e32 v15, v25, v15
	v_add_f16_e32 v25, v63, v60
	v_sub_f16_e32 v8, v8, v12
	v_sub_f16_e32 v13, v49, v13
	;; [unrolled: 1-line block ×3, first 2 shown]
	v_add_f16_e32 v49, v66, v49
	v_add_f16_e32 v12, v67, v12
	;; [unrolled: 1-line block ×3, first 2 shown]
	v_add_f16_sdwa v56, v56, v25 dst_sel:DWORD dst_unused:UNUSED_PAD src0_sel:WORD_1 src1_sel:DWORD
	v_mul_f16_e32 v52, 0x3a52, v52
	v_mul_f16_e32 v57, 0x3a52, v57
	;; [unrolled: 1-line block ×8, first 2 shown]
	v_fmamk_f16 v15, v15, 0xbcab, v60
	v_fmamk_f16 v25, v25, 0xbcab, v56
	;; [unrolled: 1-line block ×4, first 2 shown]
	v_fma_f16 v63, v64, 0x39e0, -v63
	v_fma_f16 v66, v65, 0x39e0, -v66
	;; [unrolled: 1-line block ×4, first 2 shown]
	v_fmamk_f16 v64, v13, 0xb574, v67
	v_fmamk_f16 v65, v14, 0xb574, v92
	v_fma_f16 v13, v13, 0x3574, -v93
	v_fma_f16 v14, v14, 0x3574, -v94
	;; [unrolled: 1-line block ×4, first 2 shown]
	v_add_f16_e32 v26, v26, v15
	v_add_f16_e32 v58, v58, v25
	;; [unrolled: 1-line block ×6, first 2 shown]
	v_fmac_f16_e32 v64, 0xb70e, v49
	v_fmac_f16_e32 v65, 0xb70e, v12
	;; [unrolled: 1-line block ×6, first 2 shown]
	v_add_f16_e32 v12, v65, v26
	v_sub_f16_e32 v49, v58, v64
	v_add_f16_e32 v52, v14, v15
	v_sub_f16_e32 v57, v25, v13
	v_sub_f16_e32 v14, v15, v14
	v_add_f16_e32 v13, v13, v25
	v_sub_f16_e32 v15, v26, v65
	v_add_f16_e32 v25, v64, v58
	v_add_f16_e32 v26, v53, v51
	;; [unrolled: 1-line block ×3, first 2 shown]
	v_sub_f16_e32 v51, v53, v51
	v_sub_f16_e32 v11, v16, v11
	v_add_f16_e32 v16, v30, v45
	v_add_f16_e32 v53, v9, v19
	v_sub_f16_e32 v30, v30, v45
	v_sub_f16_e32 v9, v9, v19
	v_add_f16_e32 v19, v50, v62
	v_add_f16_e32 v45, v17, v18
	;; [unrolled: 4-line block ×3, first 2 shown]
	v_sub_f16_e32 v67, v63, v8
	v_add_f16_e32 v92, v61, v66
	v_add_f16_e32 v8, v8, v63
	v_sub_f16_e32 v61, v66, v61
	v_sub_f16_e32 v63, v16, v26
	;; [unrolled: 1-line block ×7, first 2 shown]
	v_add_f16_e32 v65, v50, v30
	v_add_f16_e32 v66, v17, v9
	v_sub_f16_e32 v93, v50, v30
	v_sub_f16_e32 v94, v17, v9
	;; [unrolled: 1-line block ×3, first 2 shown]
	v_add_f16_e32 v18, v19, v18
	v_add_f16_e32 v19, v45, v62
	v_sub_f16_e32 v9, v9, v11
	v_sub_f16_e32 v50, v51, v50
	;; [unrolled: 1-line block ×3, first 2 shown]
	v_add_f16_e32 v45, v65, v51
	v_add_f16_e32 v11, v66, v11
	;; [unrolled: 1-line block ×3, first 2 shown]
	v_add_f16_sdwa v5, v5, v19 dst_sel:DWORD dst_unused:UNUSED_PAD src0_sel:WORD_1 src1_sel:DWORD
	v_mul_f16_e32 v26, 0x3a52, v26
	v_mul_f16_e32 v58, 0x3a52, v58
	;; [unrolled: 1-line block ×8, first 2 shown]
	v_fmamk_f16 v18, v18, 0xbcab, v51
	v_fmamk_f16 v19, v19, 0xbcab, v5
	;; [unrolled: 1-line block ×4, first 2 shown]
	v_fma_f16 v62, v63, 0x39e0, -v62
	v_fma_f16 v65, v64, 0x39e0, -v65
	;; [unrolled: 1-line block ×4, first 2 shown]
	v_fmamk_f16 v63, v50, 0xb574, v66
	v_fmamk_f16 v64, v17, 0xb574, v93
	v_fma_f16 v50, v50, 0x3574, -v94
	v_fma_f16 v17, v17, 0x3574, -v95
	;; [unrolled: 1-line block ×3, first 2 shown]
	v_add_f16_e32 v16, v16, v18
	v_add_f16_e32 v53, v53, v19
	;; [unrolled: 1-line block ×6, first 2 shown]
	v_fmac_f16_e32 v17, 0xb70e, v11
	v_fmac_f16_e32 v50, 0xb70e, v45
	v_fma_f16 v9, v9, 0xbb00, -v93
	v_fmac_f16_e32 v63, 0xb70e, v45
	v_fmac_f16_e32 v30, 0xb70e, v45
	v_add_f16_e32 v45, v17, v18
	v_sub_f16_e32 v58, v19, v50
	v_sub_f16_e32 v17, v18, v17
	v_add_f16_e32 v18, v50, v19
	v_pack_b32_f16 v19, v59, v55
	v_pack_b32_f16 v6, v6, v29
	v_fmac_f16_e32 v64, 0xb70e, v11
	v_fmac_f16_e32 v9, 0xb70e, v11
	v_sub_f16_e32 v26, v53, v63
	v_pack_b32_f16 v7, v7, v54
	ds_write2_b32 v68, v19, v6 offset1:52
	v_pack_b32_f16 v6, v46, v48
	v_pack_b32_f16 v19, v90, v91
	v_add_f16_e32 v11, v64, v16
	v_pack_b32_f16 v10, v10, v27
	v_sub_f16_e32 v66, v62, v9
	v_add_f16_e32 v93, v30, v65
	v_pack_b32_f16 v27, v28, v47
	v_pack_b32_f16 v28, v60, v56
	v_add_f16_e32 v9, v9, v62
	v_sub_f16_e32 v30, v65, v30
	v_pack_b32_f16 v12, v12, v49
	v_pack_b32_f16 v46, v52, v57
	v_sub_f16_e32 v16, v16, v64
	v_add_f16_e32 v29, v63, v53
	v_pack_b32_f16 v47, v67, v92
	v_pack_b32_f16 v8, v8, v61
	ds_write2_b32 v68, v6, v19 offset0:104 offset1:156
	ds_write2_b32 v3, v7, v10 offset0:80 offset1:132
	;; [unrolled: 1-line block ×5, first 2 shown]
	v_pack_b32_f16 v6, v14, v13
	v_pack_b32_f16 v7, v15, v25
	;; [unrolled: 1-line block ×4, first 2 shown]
	v_add_nc_u32_e32 v10, 0xa00, v115
	v_pack_b32_f16 v11, v45, v58
	v_pack_b32_f16 v12, v66, v93
	v_add_nc_u32_e32 v13, 0xc00, v115
	v_pack_b32_f16 v9, v9, v30
	v_pack_b32_f16 v14, v17, v18
	;; [unrolled: 1-line block ×3, first 2 shown]
	ds_write2_b32 v4, v6, v7 offset0:112 offset1:164
	ds_write2_b32 v10, v5, v8 offset0:88 offset1:140
	;; [unrolled: 1-line block ×4, first 2 shown]
	ds_write_b32 v115, v15 offset:4160
	s_waitcnt lgkmcnt(0)
	s_barrier
	buffer_gl0_inv
	ds_read2_b32 v[5:6], v68 offset1:52
	ds_read2_b32 v[7:8], v1 offset0:56 offset1:108
	ds_read2_b32 v[9:10], v2 offset0:88 offset1:140
	ds_read2_b32 v[11:12], v1 offset0:160 offset1:212
	ds_read2_b32 v[13:14], v68 offset0:104 offset1:156
	ds_read2_b32 v[15:16], v0 offset0:64 offset1:116
	ds_read2_b32 v[17:18], v4 offset0:8 offset1:60
	ds_read2_b32 v[25:26], v3 offset0:80 offset1:132
	ds_read2_b32 v[27:28], v0 offset0:168 offset1:220
	ds_read2_b32 v[29:30], v4 offset0:112 offset1:164
	ds_read_b32 v47, v68 offset:4160
	s_waitcnt lgkmcnt(10)
	v_lshrrev_b32_e32 v19, 16, v5
	s_waitcnt lgkmcnt(9)
	v_lshrrev_b32_e32 v45, 16, v8
	;; [unrolled: 2-line block ×4, first 2 shown]
	v_mul_f16_sdwa v66, v43, v8 dst_sel:DWORD dst_unused:UNUSED_PAD src0_sel:WORD_1 src1_sel:DWORD
	v_lshrrev_b32_e32 v50, 16, v10
	v_mul_f16_sdwa v64, v43, v45 dst_sel:DWORD dst_unused:UNUSED_PAD src0_sel:WORD_1 src1_sel:DWORD
	v_mul_f16_sdwa v90, v44, v46 dst_sel:DWORD dst_unused:UNUSED_PAD src0_sel:WORD_1 src1_sel:DWORD
	v_lshrrev_b32_e32 v52, 16, v12
	s_waitcnt lgkmcnt(5)
	v_lshrrev_b32_e32 v53, 16, v15
	s_waitcnt lgkmcnt(4)
	v_lshrrev_b32_e32 v55, 16, v17
	v_fmac_f16_e32 v64, v43, v8
	v_mul_f16_sdwa v8, v44, v9 dst_sel:DWORD dst_unused:UNUSED_PAD src0_sel:WORD_1 src1_sel:DWORD
	v_fma_f16 v43, v43, v45, -v66
	v_mul_f16_sdwa v45, v41, v49 dst_sel:DWORD dst_unused:UNUSED_PAD src0_sel:WORD_1 src1_sel:DWORD
	v_fmac_f16_e32 v90, v44, v9
	v_mul_f16_sdwa v9, v41, v11 dst_sel:DWORD dst_unused:UNUSED_PAD src0_sel:WORD_1 src1_sel:DWORD
	v_fma_f16 v8, v44, v46, -v8
	v_mul_f16_sdwa v44, v42, v50 dst_sel:DWORD dst_unused:UNUSED_PAD src0_sel:WORD_1 src1_sel:DWORD
	;; [unrolled: 4-line block ×4, first 2 shown]
	v_lshrrev_b32_e32 v56, 16, v16
	v_lshrrev_b32_e32 v58, 16, v18
	v_fmac_f16_e32 v41, v39, v12
	v_mul_f16_sdwa v12, v40, v15 dst_sel:DWORD dst_unused:UNUSED_PAD src0_sel:WORD_1 src1_sel:DWORD
	v_fma_f16 v10, v39, v52, -v10
	v_mul_f16_sdwa v39, v37, v55 dst_sel:DWORD dst_unused:UNUSED_PAD src0_sel:WORD_1 src1_sel:DWORD
	v_fmac_f16_e32 v42, v40, v15
	v_mul_f16_sdwa v15, v37, v17 dst_sel:DWORD dst_unused:UNUSED_PAD src0_sel:WORD_1 src1_sel:DWORD
	s_waitcnt lgkmcnt(2)
	v_lshrrev_b32_e32 v59, 16, v27
	v_fma_f16 v12, v40, v53, -v12
	v_mul_f16_sdwa v40, v38, v56 dst_sel:DWORD dst_unused:UNUSED_PAD src0_sel:WORD_1 src1_sel:DWORD
	v_fmac_f16_e32 v39, v37, v17
	v_mul_f16_sdwa v17, v38, v16 dst_sel:DWORD dst_unused:UNUSED_PAD src0_sel:WORD_1 src1_sel:DWORD
	v_fma_f16 v15, v37, v55, -v15
	v_mul_f16_sdwa v37, v35, v58 dst_sel:DWORD dst_unused:UNUSED_PAD src0_sel:WORD_1 src1_sel:DWORD
	s_waitcnt lgkmcnt(1)
	v_lshrrev_b32_e32 v61, 16, v29
	v_lshrrev_b32_e32 v62, 16, v28
	v_fmac_f16_e32 v40, v38, v16
	v_mul_f16_sdwa v16, v35, v18 dst_sel:DWORD dst_unused:UNUSED_PAD src0_sel:WORD_1 src1_sel:DWORD
	v_fma_f16 v17, v38, v56, -v17
	v_mul_f16_sdwa v38, v36, v59 dst_sel:DWORD dst_unused:UNUSED_PAD src0_sel:WORD_1 src1_sel:DWORD
	v_fmac_f16_e32 v37, v35, v18
	v_mul_f16_sdwa v18, v36, v27 dst_sel:DWORD dst_unused:UNUSED_PAD src0_sel:WORD_1 src1_sel:DWORD
	v_lshrrev_b32_e32 v65, 16, v30
	v_fma_f16 v16, v35, v58, -v16
	v_mul_f16_sdwa v35, v33, v61 dst_sel:DWORD dst_unused:UNUSED_PAD src0_sel:WORD_1 src1_sel:DWORD
	v_fmac_f16_e32 v38, v36, v27
	v_mul_f16_sdwa v27, v33, v29 dst_sel:DWORD dst_unused:UNUSED_PAD src0_sel:WORD_1 src1_sel:DWORD
	v_fma_f16 v18, v36, v59, -v18
	v_mul_f16_sdwa v36, v34, v62 dst_sel:DWORD dst_unused:UNUSED_PAD src0_sel:WORD_1 src1_sel:DWORD
	s_waitcnt lgkmcnt(0)
	v_lshrrev_b32_e32 v67, 16, v47
	v_fmac_f16_e32 v35, v33, v29
	v_mul_f16_sdwa v29, v34, v28 dst_sel:DWORD dst_unused:UNUSED_PAD src0_sel:WORD_1 src1_sel:DWORD
	v_fma_f16 v27, v33, v61, -v27
	v_mul_f16_sdwa v33, v31, v65 dst_sel:DWORD dst_unused:UNUSED_PAD src0_sel:WORD_1 src1_sel:DWORD
	v_fmac_f16_e32 v36, v34, v28
	v_mul_f16_sdwa v28, v31, v30 dst_sel:DWORD dst_unused:UNUSED_PAD src0_sel:WORD_1 src1_sel:DWORD
	v_fma_f16 v29, v34, v62, -v29
	v_mul_f16_sdwa v34, v32, v67 dst_sel:DWORD dst_unused:UNUSED_PAD src0_sel:WORD_1 src1_sel:DWORD
	v_fmac_f16_e32 v33, v31, v30
	v_mul_f16_sdwa v30, v32, v47 dst_sel:DWORD dst_unused:UNUSED_PAD src0_sel:WORD_1 src1_sel:DWORD
	v_fma_f16 v28, v31, v65, -v28
	v_add_f16_e32 v31, v64, v90
	v_fmac_f16_e32 v34, v32, v47
	v_add_f16_e32 v46, v5, v64
	v_fma_f16 v30, v32, v67, -v30
	v_add_f16_e32 v32, v43, v8
	v_fma_f16 v5, -0.5, v31, v5
	v_sub_f16_e32 v31, v43, v8
	v_lshrrev_b32_e32 v48, 16, v6
	v_add_f16_e32 v43, v19, v43
	v_fmac_f16_e32 v19, -0.5, v32
	v_sub_f16_e32 v32, v64, v90
	v_fmamk_f16 v47, v31, 0xbaee, v5
	v_fmac_f16_e32 v5, 0x3aee, v31
	v_add_f16_e32 v31, v45, v44
	v_add_f16_e32 v8, v43, v8
	v_fmamk_f16 v43, v32, 0x3aee, v19
	v_add_f16_e32 v49, v6, v45
	v_fmac_f16_e32 v19, 0xbaee, v32
	v_add_f16_e32 v32, v9, v11
	v_fmac_f16_e32 v6, -0.5, v31
	v_sub_f16_e32 v31, v9, v11
	v_add_f16_e32 v9, v48, v9
	v_lshrrev_b32_e32 v51, 16, v13
	v_fmac_f16_e32 v48, -0.5, v32
	v_sub_f16_e32 v32, v45, v44
	v_add_f16_e32 v49, v49, v44
	v_add_f16_e32 v9, v9, v11
	;; [unrolled: 1-line block ×3, first 2 shown]
	v_fmamk_f16 v44, v31, 0xbaee, v6
	v_fmac_f16_e32 v6, 0x3aee, v31
	v_fmamk_f16 v31, v32, 0x3aee, v48
	v_add_f16_e32 v45, v13, v41
	v_fmac_f16_e32 v48, 0xbaee, v32
	v_add_f16_e32 v32, v10, v12
	v_fma_f16 v11, -0.5, v11, v13
	v_sub_f16_e32 v13, v10, v12
	v_add_f16_e32 v10, v51, v10
	v_lshrrev_b32_e32 v54, 16, v14
	v_fmac_f16_e32 v51, -0.5, v32
	v_sub_f16_e32 v32, v41, v42
	v_add_f16_e32 v45, v45, v42
	v_add_f16_e32 v10, v10, v12
	v_add_f16_e32 v12, v39, v40
	v_fmamk_f16 v41, v13, 0xbaee, v11
	v_fmac_f16_e32 v11, 0x3aee, v13
	v_fmamk_f16 v13, v32, 0x3aee, v51
	v_add_f16_e32 v42, v14, v39
	v_fmac_f16_e32 v51, 0xbaee, v32
	v_add_f16_e32 v32, v15, v17
	v_fmac_f16_e32 v14, -0.5, v12
	v_sub_f16_e32 v12, v15, v17
	v_add_f16_e32 v15, v54, v15
	v_lshrrev_b32_e32 v57, 16, v25
	v_fmac_f16_e32 v54, -0.5, v32
	v_sub_f16_e32 v32, v39, v40
	v_fmamk_f16 v39, v12, 0xbaee, v14
	v_fmac_f16_e32 v14, 0x3aee, v12
	v_add_f16_e32 v12, v15, v17
	v_add_f16_e32 v15, v37, v38
	;; [unrolled: 1-line block ×3, first 2 shown]
	v_fmamk_f16 v17, v32, 0x3aee, v54
	v_add_f16_e32 v40, v25, v37
	v_fmac_f16_e32 v54, 0xbaee, v32
	v_add_f16_e32 v32, v16, v18
	v_fma_f16 v15, -0.5, v15, v25
	v_sub_f16_e32 v25, v16, v18
	v_add_f16_e32 v16, v57, v16
	v_lshrrev_b32_e32 v60, 16, v26
	v_fmac_f16_e32 v57, -0.5, v32
	v_sub_f16_e32 v32, v37, v38
	v_add_f16_e32 v40, v40, v38
	v_add_f16_e32 v16, v16, v18
	;; [unrolled: 1-line block ×3, first 2 shown]
	v_fmamk_f16 v37, v25, 0xbaee, v15
	v_fmac_f16_e32 v15, 0x3aee, v25
	v_fmamk_f16 v25, v32, 0x3aee, v57
	v_add_f16_e32 v38, v26, v35
	v_fmac_f16_e32 v57, 0xbaee, v32
	v_add_f16_e32 v32, v27, v29
	v_fmac_f16_e32 v26, -0.5, v18
	v_sub_f16_e32 v18, v27, v29
	v_add_f16_e32 v27, v60, v27
	v_lshrrev_b32_e32 v63, 16, v7
	v_fmac_f16_e32 v60, -0.5, v32
	v_sub_f16_e32 v32, v35, v36
	v_fmamk_f16 v35, v18, 0xbaee, v26
	v_fmac_f16_e32 v26, 0x3aee, v18
	v_add_f16_e32 v18, v27, v29
	v_add_f16_e32 v27, v33, v34
	v_add_f16_e32 v38, v38, v36
	v_fmamk_f16 v29, v32, 0x3aee, v60
	v_fmac_f16_e32 v60, 0xbaee, v32
	v_add_f16_e32 v32, v28, v30
	v_add_f16_e32 v36, v7, v33
	v_fmac_f16_e32 v7, -0.5, v27
	v_sub_f16_e32 v27, v28, v30
	v_add_f16_e32 v28, v63, v28
	v_add_f16_e32 v46, v46, v90
	v_fmac_f16_e32 v63, -0.5, v32
	v_sub_f16_e32 v32, v33, v34
	v_add_f16_e32 v33, v36, v34
	v_fmamk_f16 v34, v27, 0xbaee, v7
	v_fmac_f16_e32 v7, 0x3aee, v27
	v_add_f16_e32 v27, v28, v30
	v_pack_b32_f16 v30, v47, v43
	v_pack_b32_f16 v5, v5, v19
	;; [unrolled: 1-line block ×5, first 2 shown]
	ds_write_b32 v68, v30 offset:1456
	v_pack_b32_f16 v13, v41, v13
	ds_write_b32 v68, v5 offset:2912
	ds_write2_b32 v68, v8, v9 offset1:52
	v_pack_b32_f16 v5, v6, v48
	v_pack_b32_f16 v8, v11, v51
	;; [unrolled: 1-line block ×7, first 2 shown]
	v_fmamk_f16 v28, v32, 0x3aee, v63
	v_fmac_f16_e32 v63, 0xbaee, v32
	ds_write2_b32 v1, v19, v13 offset0:160 offset1:212
	ds_write2_b32 v0, v5, v8 offset0:12 offset1:64
	;; [unrolled: 1-line block ×3, first 2 shown]
	ds_write_b32 v68, v10 offset:3536
	v_pack_b32_f16 v5, v40, v16
	v_pack_b32_f16 v8, v38, v18
	;; [unrolled: 1-line block ×4, first 2 shown]
	ds_write2_b32 v4, v11, v12 offset0:8 offset1:60
	v_pack_b32_f16 v11, v33, v27
	v_pack_b32_f16 v9, v35, v29
	;; [unrolled: 1-line block ×4, first 2 shown]
	ds_write2_b32 v3, v5, v8 offset0:80 offset1:132
	ds_write2_b32 v0, v6, v10 offset0:168 offset1:220
	ds_write_b32 v68, v11 offset:1248
	ds_write2_b32 v4, v9, v12 offset0:112 offset1:164
	ds_write_b32 v68, v7 offset:4160
	s_waitcnt lgkmcnt(0)
	s_barrier
	buffer_gl0_inv
	ds_read2_b32 v[5:6], v68 offset1:52
	ds_read2_b32 v[11:12], v4 offset0:34 offset1:86
	s_waitcnt lgkmcnt(1)
	v_lshrrev_b32_e32 v9, 16, v5
	s_waitcnt lgkmcnt(0)
	v_lshrrev_b32_e32 v17, 16, v11
	v_mul_f16_sdwa v7, v89, v9 dst_sel:DWORD dst_unused:UNUSED_PAD src0_sel:WORD_1 src1_sel:DWORD
	v_mul_f16_sdwa v16, v88, v17 dst_sel:DWORD dst_unused:UNUSED_PAD src0_sel:WORD_1 src1_sel:DWORD
	v_fmac_f16_e32 v7, v89, v5
	v_mul_f16_sdwa v5, v89, v5 dst_sel:DWORD dst_unused:UNUSED_PAD src0_sel:WORD_1 src1_sel:DWORD
	v_fmac_f16_e32 v16, v88, v11
	v_mul_f16_sdwa v11, v88, v11 dst_sel:DWORD dst_unused:UNUSED_PAD src0_sel:WORD_1 src1_sel:DWORD
	v_cvt_f32_f16_e32 v7, v7
	v_fma_f16 v5, v89, v9, -v5
	v_fma_f16 v11, v88, v17, -v11
	v_cvt_f64_f32_e32 v[7:8], v7
	v_cvt_f32_f16_e32 v5, v5
	v_cvt_f32_f16_e32 v11, v11
	v_cvt_f64_f32_e32 v[9:10], v5
	v_mul_f64 v[7:8], v[7:8], s[4:5]
	v_mul_f64 v[9:10], v[9:10], s[4:5]
	v_and_or_b32 v5, 0x1ff, v8, v7
	v_lshrrev_b32_e32 v7, 8, v8
	v_bfe_u32 v13, v8, 20, 11
	v_cmp_ne_u32_e64 s0, 0, v5
	v_and_or_b32 v9, 0x1ff, v10, v9
	v_lshrrev_b32_e32 v18, 8, v10
	v_bfe_u32 v19, v10, 20, 11
	v_add_nc_u32_e32 v25, 0xfffffc10, v13
	v_cndmask_b32_e64 v5, 0, 1, s0
	v_cmp_ne_u32_e64 s0, 0, v9
	v_lshrrev_b32_e32 v10, 16, v10
	v_cmp_eq_u32_e64 s2, 0x40f, v25
	v_and_or_b32 v7, 0xffe, v7, v5
	v_sub_nc_u32_e32 v5, 0x3f1, v13
	v_cndmask_b32_e64 v9, 0, 1, s0
	v_sub_nc_u32_e32 v13, 0x3f1, v19
	v_or_b32_e32 v14, 0x1000, v7
	v_med3_i32 v5, v5, 0, 13
	v_and_or_b32 v9, 0xffe, v18, v9
	v_med3_i32 v27, v13, 0, 13
	v_lshl_or_b32 v18, v25, 12, v7
	v_lshrrev_b32_e32 v15, v5, v14
	v_or_b32_e32 v26, 0x1000, v9
	v_lshlrev_b32_e32 v5, v5, v15
	v_lshrrev_b32_e32 v28, v27, v26
	v_cmp_ne_u32_e64 s0, v5, v14
	v_cvt_f32_f16_e32 v14, v16
	v_lshlrev_b32_e32 v27, v27, v28
	v_cndmask_b32_e64 v5, 0, 1, s0
	v_cmp_gt_i32_e64 s0, 1, v25
	v_cvt_f64_f32_e32 v[13:14], v14
	v_cmp_ne_u32_e64 s1, v27, v26
	v_add_nc_u32_e32 v27, 0xfffffc10, v19
	v_or_b32_e32 v5, v15, v5
	v_mad_u64_u32 v[15:16], null, s10, v22, 0
	v_lshl_or_b32 v19, v27, 12, v9
	v_cndmask_b32_e64 v18, v18, v5, s0
	v_mov_b32_e32 v5, v16
	v_and_b32_e32 v29, 7, v18
	v_cndmask_b32_e64 v16, 0, 1, s1
	v_lshrrev_b32_e32 v18, 2, v18
	v_cmp_lt_i32_e64 s0, 5, v29
	v_cmp_eq_u32_e64 s1, 3, v29
	v_or_b32_e32 v16, v28, v16
	v_mul_f64 v[13:14], v[13:14], s[4:5]
	s_or_b32 s0, s1, s0
	v_add_co_ci_u32_e64 v17, s0, 0, v18, s0
	v_cmp_gt_i32_e64 s0, 1, v27
	v_cndmask_b32_e64 v26, v19, v16, s0
	v_cmp_ne_u32_e64 s0, 0, v7
	v_mad_u64_u32 v[18:19], null, s11, v22, v[5:6]
	v_and_b32_e32 v29, 7, v26
	v_cndmask_b32_e64 v7, 0, 1, s0
	v_cmp_gt_i32_e64 s0, 31, v25
	v_cmp_eq_u32_e64 s1, 3, v29
	v_lshl_or_b32 v7, v7, 9, 0x7c00
	v_cndmask_b32_e64 v28, 0x7c00, v17, s0
	v_cmp_lt_i32_e64 s0, 5, v29
	v_cvt_f64_f32_e32 v[16:17], v11
	v_lshrrev_b32_e32 v11, 16, v8
	v_and_or_b32 v8, 0x1ff, v14, v13
	v_cndmask_b32_e64 v5, v28, v7, s2
	v_lshrrev_b32_e32 v7, 2, v26
	s_or_b32 s0, s1, s0
	v_lshrrev_b32_e32 v19, 8, v14
	v_bfe_u32 v22, v14, 20, 11
	v_mad_u64_u32 v[25:26], null, s8, v86, 0
	v_add_co_ci_u32_e64 v7, s0, 0, v7, s0
	v_cmp_ne_u32_e64 s0, 0, v9
	v_and_or_b32 v11, 0x8000, v11, v5
	v_mov_b32_e32 v5, v26
	v_cndmask_b32_e64 v9, 0, 1, s0
	v_cmp_ne_u32_e64 s0, 0, v8
	v_lshl_or_b32 v9, v9, 9, 0x7c00
	v_cndmask_b32_e64 v13, 0, 1, s0
	v_cmp_gt_i32_e64 s0, 31, v27
	v_and_or_b32 v13, 0xffe, v19, v13
	v_cndmask_b32_e64 v28, 0x7c00, v7, s0
	v_mul_f64 v[7:8], v[16:17], s[4:5]
	v_sub_nc_u32_e32 v16, 0x3f1, v22
	v_cmp_eq_u32_e64 s0, 0x40f, v27
	v_or_b32_e32 v17, 0x1000, v13
	v_med3_i32 v19, v16, 0, 13
	v_cndmask_b32_e64 v9, v28, v9, s0
	v_mov_b32_e32 v16, v18
	v_lshrrev_b32_e32 v28, 16, v6
	v_lshrrev_b32_e32 v18, v19, v17
	v_and_or_b32 v27, 0x8000, v10, v9
	v_mad_u64_u32 v[9:10], null, s9, v86, v[5:6]
	v_mul_f16_sdwa v10, v87, v28 dst_sel:DWORD dst_unused:UNUSED_PAD src0_sel:WORD_1 src1_sel:DWORD
	v_lshlrev_b32_e32 v19, v19, v18
	v_and_b32_e32 v5, 0xffff, v11
	v_lshlrev_b64 v[15:16], 2, v[15:16]
	v_fmac_f16_e32 v10, v87, v6
	v_cmp_ne_u32_e64 s0, v19, v17
	v_and_or_b32 v7, 0x1ff, v8, v7
	v_add_nc_u32_e32 v17, 0xfffffc10, v22
	v_lshrrev_b32_e32 v19, 8, v8
	v_cvt_f32_f16_e32 v10, v10
	v_cndmask_b32_e64 v11, 0, 1, s0
	v_cmp_ne_u32_e64 s0, 0, v7
	v_bfe_u32 v22, v8, 20, 11
	v_lshl_or_b32 v26, v17, 12, v13
	v_lshl_or_b32 v27, v27, 16, v5
	v_or_b32_e32 v18, v18, v11
	v_cndmask_b32_e64 v7, 0, 1, s0
	v_cvt_f64_f32_e32 v[10:11], v10
	v_cmp_gt_i32_e64 s0, 1, v17
	v_mul_f16_sdwa v5, v87, v6 dst_sel:DWORD dst_unused:UNUSED_PAD src0_sel:WORD_1 src1_sel:DWORD
	v_and_or_b32 v7, 0xffe, v19, v7
	v_sub_nc_u32_e32 v19, 0x3f1, v22
	v_cndmask_b32_e64 v18, v26, v18, s0
	v_mov_b32_e32 v26, v9
	v_add_co_u32 v31, s0, s6, v15
	v_or_b32_e32 v29, 0x1000, v7
	v_med3_i32 v19, v19, 0, 13
	v_and_b32_e32 v9, 7, v18
	v_fma_f16 v15, v87, v28, -v5
	v_add_co_ci_u32_e64 v32, s0, s7, v16, s0
	v_lshrrev_b32_e32 v30, v19, v29
	v_cmp_lt_i32_e64 s0, 5, v9
	v_cmp_eq_u32_e64 s1, 3, v9
	v_cvt_f32_f16_e32 v15, v15
	v_lshrrev_b32_e32 v18, 2, v18
	v_lshlrev_b32_e32 v16, v19, v30
	v_mul_f64 v[9:10], v[10:11], s[4:5]
	s_or_b32 s0, s1, s0
	v_add_nc_u32_e32 v11, 0xfffffc10, v22
	v_add_co_ci_u32_e64 v18, s0, 0, v18, s0
	v_cmp_ne_u32_e64 s2, v16, v29
	v_cvt_f64_f32_e32 v[15:16], v15
	v_cmp_ne_u32_e64 s0, 0, v13
	v_lshl_or_b32 v22, v11, 12, v7
	v_lshlrev_b64 v[5:6], 2, v[25:26]
	v_cndmask_b32_e64 v19, 0, 1, s2
	s_mul_i32 s6, s8, 0x222
	v_cndmask_b32_e64 v13, 0, 1, s0
	v_cmp_gt_i32_e64 s0, 1, v11
	v_or_b32_e32 v19, v30, v19
	v_add_co_u32 v5, s2, v31, v5
	v_lshl_or_b32 v13, v13, 9, 0x7c00
	v_add_co_ci_u32_e64 v6, s2, v32, v6, s2
	v_cndmask_b32_e64 v19, v22, v19, s0
	v_cmp_gt_i32_e64 s0, 31, v17
	v_and_or_b32 v9, 0x1ff, v10, v9
	global_store_dword v[5:6], v27, off
	v_and_b32_e32 v22, 7, v19
	v_cndmask_b32_e64 v18, 0x7c00, v18, s0
	v_cmp_eq_u32_e64 s0, 0x40f, v17
	v_cmp_ne_u32_e64 s1, 0, v9
	v_cndmask_b32_e64 v17, v18, v13, s0
	v_lshrrev_b32_e32 v18, 16, v14
	v_mul_f64 v[13:14], v[15:16], s[4:5]
	v_cmp_lt_i32_e64 s0, 5, v22
	v_cndmask_b32_e64 v9, 0, 1, s1
	v_cmp_eq_u32_e64 s1, 3, v22
	v_and_or_b32 v17, 0x8000, v18, v17
	v_lshrrev_b32_e32 v18, 2, v19
	v_lshrrev_b32_e32 v15, 8, v10
	v_bfe_u32 v16, v10, 20, 11
	s_or_b32 s0, s1, s0
	v_lshrrev_b32_e32 v22, 16, v12
	v_add_co_ci_u32_e64 v18, s0, 0, v18, s0
	v_and_or_b32 v9, 0xffe, v15, v9
	v_sub_nc_u32_e32 v15, 0x3f1, v16
	v_cmp_ne_u32_e64 s0, 0, v7
	v_mul_f16_sdwa v26, v85, v22 dst_sel:DWORD dst_unused:UNUSED_PAD src0_sel:WORD_1 src1_sel:DWORD
	v_add_nc_u32_e32 v16, 0xfffffc10, v16
	v_or_b32_e32 v19, 0x1000, v9
	v_med3_i32 v15, v15, 0, 13
	v_cndmask_b32_e64 v7, 0, 1, s0
	v_cmp_gt_i32_e64 s0, 31, v11
	v_fmac_f16_e32 v26, v85, v12
	v_and_or_b32 v13, 0x1ff, v14, v13
	v_lshrrev_b32_e32 v25, v15, v19
	v_lshl_or_b32 v7, v7, 9, 0x7c00
	v_cndmask_b32_e64 v18, 0x7c00, v18, s0
	v_cmp_eq_u32_e64 s0, 0x40f, v11
	v_and_b32_e32 v17, 0xffff, v17
	s_mul_hi_u32 s1, s8, 0x222
	v_mul_f16_sdwa v12, v85, v12 dst_sel:DWORD dst_unused:UNUSED_PAD src0_sel:WORD_1 src1_sel:DWORD
	v_lshrrev_b32_e32 v10, 16, v10
	v_cndmask_b32_e64 v11, v18, v7, s0
	v_lshlrev_b32_e32 v7, v15, v25
	v_cmp_ne_u32_e64 s0, 0, v13
	v_lshrrev_b32_e32 v18, 16, v8
	v_lshrrev_b32_e32 v15, 8, v14
	v_cvt_f32_f16_e32 v8, v26
	v_bfe_u32 v26, v14, 20, 11
	v_cndmask_b32_e64 v13, 0, 1, s0
	v_cmp_ne_u32_e64 s0, v7, v19
	v_and_or_b32 v11, 0x8000, v18, v11
	v_cvt_f64_f32_e32 v[7:8], v8
	v_fma_f16 v12, v85, v22, -v12
	v_and_or_b32 v13, 0xffe, v15, v13
	v_cndmask_b32_e64 v19, 0, 1, s0
	v_sub_nc_u32_e32 v15, 0x3f1, v26
	v_cmp_gt_i32_e64 s0, 1, v16
	v_lshl_or_b32 v28, v11, 16, v17
	v_or_b32_e32 v18, 0x1000, v13
	v_or_b32_e32 v19, v25, v19
	v_lshl_or_b32 v25, v16, 12, v9
	v_med3_i32 v15, v15, 0, 13
	v_add_nc_u32_e32 v17, 0xfffffc10, v26
	v_lshrrev_b32_e32 v14, 16, v14
	v_cndmask_b32_e64 v19, v25, v19, s0
	v_lshrrev_b32_e32 v25, v15, v18
	s_mul_i32 s0, s9, 0x222
	s_add_i32 s7, s1, s0
	v_and_b32_e32 v27, 7, v19
	v_lshlrev_b32_e32 v11, v15, v25
	v_lshrrev_b32_e32 v15, 2, v19
	v_mul_f64 v[7:8], v[7:8], s[4:5]
	s_lshl_b64 s[6:7], s[6:7], 2
	v_cmp_lt_i32_e64 s0, 5, v27
	v_cmp_eq_u32_e64 s1, 3, v27
	v_cmp_ne_u32_e64 s2, v11, v18
	v_lshl_or_b32 v18, v17, 12, v13
	s_or_b32 s0, s1, s0
	v_cndmask_b32_e64 v11, 0, 1, s2
	v_add_co_ci_u32_e64 v15, s0, 0, v15, s0
	v_cmp_ne_u32_e64 s0, 0, v9
	v_or_b32_e32 v11, v25, v11
	v_cndmask_b32_e64 v9, 0, 1, s0
	v_cmp_gt_i32_e64 s0, 1, v17
	v_and_or_b32 v7, 0x1ff, v8, v7
	v_cndmask_b32_e64 v18, v18, v11, s0
	v_cvt_f32_f16_e32 v11, v12
	v_cmp_gt_i32_e64 s0, 31, v16
	v_lshl_or_b32 v9, v9, 9, 0x7c00
	v_cmp_ne_u32_e64 s2, 0, v7
	v_and_b32_e32 v19, 7, v18
	v_cvt_f64_f32_e32 v[11:12], v11
	v_cndmask_b32_e64 v15, 0x7c00, v15, s0
	v_cmp_eq_u32_e64 s0, 0x40f, v16
	v_cndmask_b32_e64 v7, 0, 1, s2
	v_cmp_eq_u32_e64 s1, 3, v19
	v_lshrrev_b32_e32 v16, 8, v8
	s_mul_hi_u32 s2, s8, 0xfffffe12
	v_cndmask_b32_e64 v9, v15, v9, s0
	v_cmp_lt_i32_e64 s0, 5, v19
	v_lshrrev_b32_e32 v15, 2, v18
	v_bfe_u32 v19, v8, 20, 11
	v_and_or_b32 v7, 0xffe, v16, v7
	s_or_b32 s0, s1, s0
	s_mul_i32 s1, s9, 0xfffffe12
	v_add_co_ci_u32_e64 v18, s0, 0, v15, s0
	v_cmp_ne_u32_e64 s0, 0, v13
	v_sub_nc_u32_e32 v22, 0x3f1, v19
	ds_read2_b32 v[15:16], v68 offset0:104 offset1:156
	v_or_b32_e32 v25, 0x1000, v7
	v_mul_f64 v[11:12], v[11:12], s[4:5]
	v_cndmask_b32_e64 v13, 0, 1, s0
	v_cmp_gt_i32_e64 s0, 31, v17
	v_med3_i32 v22, v22, 0, 13
	v_lshl_or_b32 v13, v13, 9, 0x7c00
	v_cndmask_b32_e64 v18, 0x7c00, v18, s0
	v_cmp_eq_u32_e64 s0, 0x40f, v17
	v_lshrrev_b32_e32 v17, v22, v25
	v_cndmask_b32_e64 v13, v18, v13, s0
	v_lshlrev_b32_e32 v18, v22, v17
	v_add_co_u32 v5, s0, v5, s6
	v_add_co_ci_u32_e64 v6, s0, s7, v6, s0
	v_cmp_ne_u32_e64 s0, v18, v25
	v_and_or_b32 v13, 0x8000, v14, v13
	s_waitcnt lgkmcnt(0)
	v_lshrrev_b32_e32 v14, 16, v15
	v_and_or_b32 v11, 0x1ff, v12, v11
	v_and_or_b32 v22, 0x8000, v10, v9
	v_cndmask_b32_e64 v9, 0, 1, s0
	v_add_nc_u32_e32 v18, 0xfffffc10, v19
	v_mul_f16_sdwa v10, v84, v14 dst_sel:DWORD dst_unused:UNUSED_PAD src0_sel:WORD_1 src1_sel:DWORD
	v_cmp_ne_u32_e64 s0, 0, v11
	v_lshrrev_b32_e32 v19, 8, v12
	v_bfe_u32 v25, v12, 20, 11
	v_or_b32_e32 v9, v17, v9
	v_fmac_f16_e32 v10, v84, v15
	v_cndmask_b32_e64 v11, 0, 1, s0
	v_lshl_or_b32 v17, v18, 12, v7
	v_cmp_gt_i32_e64 s0, 1, v18
	v_and_b32_e32 v22, 0xffff, v22
	v_cvt_f32_f16_e32 v10, v10
	v_and_or_b32 v11, 0xffe, v19, v11
	v_sub_nc_u32_e32 v19, 0x3f1, v25
	v_cndmask_b32_e64 v17, v17, v9, s0
	s_sub_i32 s0, s2, s8
	v_cvt_f64_f32_e32 v[9:10], v10
	v_or_b32_e32 v27, 0x1000, v11
	v_med3_i32 v19, v19, 0, 13
	v_and_b32_e32 v26, 7, v17
	s_add_i32 s3, s0, s1
	v_mul_f16_sdwa v15, v84, v15 dst_sel:DWORD dst_unused:UNUSED_PAD src0_sel:WORD_1 src1_sel:DWORD
	v_lshl_or_b32 v22, v13, 16, v22
	v_lshrrev_b32_e32 v29, v19, v27
	v_cmp_lt_i32_e64 s0, 5, v26
	v_cmp_eq_u32_e64 s1, 3, v26
	v_lshrrev_b32_e32 v13, 2, v17
	v_fma_f16 v14, v84, v14, -v15
	v_lshlrev_b32_e32 v17, v19, v29
	v_add_nc_u32_e32 v19, 0xfffffc10, v25
	s_or_b32 s0, s1, s0
	v_lshrrev_b32_e32 v26, 16, v8
	v_add_co_ci_u32_e64 v15, s0, 0, v13, s0
	v_cmp_ne_u32_e64 s0, v17, v27
	v_cvt_f32_f16_e32 v13, v14
	v_lshl_or_b32 v25, v19, 12, v11
	s_mul_i32 s2, s8, 0xfffffe12
	v_mul_f64 v[9:10], v[9:10], s[4:5]
	v_cndmask_b32_e64 v17, 0, 1, s0
	v_cmp_ne_u32_e64 s0, 0, v7
	v_cvt_f64_f32_e32 v[13:14], v13
	s_lshl_b64 s[8:9], s[2:3], 2
	v_lshrrev_b32_e32 v12, 16, v12
	v_or_b32_e32 v17, v29, v17
	v_cndmask_b32_e64 v7, 0, 1, s0
	v_cmp_gt_i32_e64 s0, 31, v18
	v_lshl_or_b32 v7, v7, 9, 0x7c00
	v_cndmask_b32_e64 v15, 0x7c00, v15, s0
	v_cmp_gt_i32_e64 s0, 1, v19
	v_cndmask_b32_e64 v25, v25, v17, s0
	v_cmp_eq_u32_e64 s0, 0x40f, v18
	v_and_or_b32 v9, 0x1ff, v10, v9
	v_bfe_u32 v27, v10, 20, 11
	v_cndmask_b32_e64 v15, v15, v7, s0
	ds_read2_b32 v[7:8], v4 offset0:138 offset1:190
	v_and_b32_e32 v4, 7, v25
	v_mul_f64 v[13:14], v[13:14], s[4:5]
	v_add_co_u32 v17, s0, v5, s8
	v_cmp_ne_u32_e64 s2, 0, v9
	v_add_co_ci_u32_e64 v18, s0, s9, v6, s0
	v_cmp_lt_i32_e64 s0, 5, v4
	v_cmp_eq_u32_e64 s1, 3, v4
	v_lshrrev_b32_e32 v4, 2, v25
	v_cndmask_b32_e64 v9, 0, 1, s2
	v_lshrrev_b32_e32 v25, 8, v10
	v_and_or_b32 v15, 0x8000, v26, v15
	s_or_b32 s0, s1, s0
	global_store_dword v[5:6], v28, off
	global_store_dword v[17:18], v22, off
	v_add_co_ci_u32_e64 v4, s0, 0, v4, s0
	v_and_or_b32 v9, 0xffe, v25, v9
	v_sub_nc_u32_e32 v25, 0x3f1, v27
	s_waitcnt lgkmcnt(0)
	v_lshrrev_b32_e32 v29, 16, v7
	v_cmp_ne_u32_e64 s0, 0, v11
	v_add_nc_u32_e32 v27, 0xfffffc10, v27
	v_or_b32_e32 v30, 0x1000, v9
	v_med3_i32 v25, v25, 0, 13
	v_mul_f16_sdwa v26, v83, v29 dst_sel:DWORD dst_unused:UNUSED_PAD src0_sel:WORD_1 src1_sel:DWORD
	v_cndmask_b32_e64 v11, 0, 1, s0
	v_cmp_gt_i32_e64 s0, 31, v19
	v_and_or_b32 v13, 0x1ff, v14, v13
	v_lshrrev_b32_e32 v31, v25, v30
	v_fmac_f16_e32 v26, v83, v7
	v_lshl_or_b32 v11, v11, 9, 0x7c00
	v_cndmask_b32_e64 v4, 0x7c00, v4, s0
	v_cmp_eq_u32_e64 s0, 0x40f, v19
	v_lshlrev_b32_e32 v19, v25, v31
	v_lshrrev_b32_e32 v32, 8, v14
	v_cndmask_b32_e64 v4, v4, v11, s0
	v_cvt_f32_f16_e32 v11, v26
	v_cmp_ne_u32_e64 s0, 0, v13
	v_and_or_b32 v4, 0x8000, v12, v4
	v_cvt_f64_f32_e32 v[25:26], v11
	v_cndmask_b32_e64 v13, 0, 1, s0
	v_bfe_u32 v11, v14, 20, 11
	v_cmp_ne_u32_e64 s0, v19, v30
	v_and_b32_e32 v12, 0xffff, v15
	v_lshrrev_b32_e32 v14, 16, v14
	v_and_or_b32 v13, 0xffe, v32, v13
	v_sub_nc_u32_e32 v30, 0x3f1, v11
	v_cndmask_b32_e64 v19, 0, 1, s0
	v_cmp_gt_i32_e64 s0, 1, v27
	v_lshl_or_b32 v22, v4, 16, v12
	v_or_b32_e32 v32, 0x1000, v13
	v_med3_i32 v30, v30, 0, 13
	v_or_b32_e32 v19, v31, v19
	v_lshl_or_b32 v31, v27, 12, v9
	v_cndmask_b32_e64 v15, v31, v19, s0
	v_lshrrev_b32_e32 v19, v30, v32
	v_add_co_u32 v6, s0, v17, s6
	v_mul_f64 v[4:5], v[25:26], s[4:5]
	v_and_b32_e32 v12, 7, v15
	v_lshlrev_b32_e32 v28, v30, v19
	v_mul_f16_sdwa v25, v83, v7 dst_sel:DWORD dst_unused:UNUSED_PAD src0_sel:WORD_1 src1_sel:DWORD
	v_add_co_ci_u32_e64 v7, s0, s7, v18, s0
	v_cmp_lt_i32_e64 s0, 5, v12
	v_cmp_ne_u32_e64 s1, v28, v32
	v_fma_f16 v17, v83, v29, -v25
	v_lshrrev_b32_e32 v15, 2, v15
	v_add_nc_u32_e32 v25, 0xfffffc10, v11
	v_lshrrev_b32_e32 v28, 16, v16
	v_cndmask_b32_e64 v18, 0, 1, s1
	v_cmp_eq_u32_e64 s1, 3, v12
	v_cvt_f32_f16_e32 v11, v17
	global_store_dword v[6:7], v22, off
	v_or_b32_e32 v17, v19, v18
	s_or_b32 s0, s1, s0
	v_cvt_f64_f32_e32 v[11:12], v11
	v_add_co_ci_u32_e64 v15, s0, 0, v15, s0
	v_cmp_ne_u32_e64 s0, 0, v9
	v_lshl_or_b32 v18, v25, 12, v13
	v_and_or_b32 v4, 0x1ff, v5, v4
	v_lshrrev_b32_e32 v19, 8, v5
	v_bfe_u32 v26, v5, 20, 11
	v_cndmask_b32_e64 v9, 0, 1, s0
	v_cmp_gt_i32_e64 s0, 1, v25
	v_lshrrev_b32_e32 v5, 16, v5
	v_lshl_or_b32 v9, v9, 9, 0x7c00
	v_cndmask_b32_e64 v17, v18, v17, s0
	v_cmp_gt_i32_e64 s0, 31, v27
	v_and_b32_e32 v18, 7, v17
	v_cndmask_b32_e64 v15, 0x7c00, v15, s0
	v_cmp_ne_u32_e64 s0, 0, v4
	v_cmp_eq_u32_e64 s1, 3, v18
	v_cndmask_b32_e64 v4, 0, 1, s0
	v_cmp_eq_u32_e64 s0, 0x40f, v27
	v_lshrrev_b32_e32 v27, 16, v10
	v_and_or_b32 v4, 0xffe, v19, v4
	v_cndmask_b32_e64 v15, v15, v9, s0
	v_cmp_lt_i32_e64 s0, 5, v18
	v_mul_f64 v[9:10], v[11:12], s[4:5]
	v_lshrrev_b32_e32 v11, 2, v17
	v_sub_nc_u32_e32 v19, 0x3f1, v26
	v_or_b32_e32 v17, 0x1000, v4
	s_or_b32 s0, s1, s0
	v_mul_f16_sdwa v18, v82, v28 dst_sel:DWORD dst_unused:UNUSED_PAD src0_sel:WORD_1 src1_sel:DWORD
	v_add_co_ci_u32_e64 v11, s0, 0, v11, s0
	v_med3_i32 v12, v19, 0, 13
	v_cmp_ne_u32_e64 s0, 0, v13
	v_fmac_f16_e32 v18, v82, v16
	v_and_or_b32 v15, 0x8000, v27, v15
	v_mul_f16_sdwa v16, v82, v16 dst_sel:DWORD dst_unused:UNUSED_PAD src0_sel:WORD_1 src1_sel:DWORD
	v_lshrrev_b32_e32 v19, v12, v17
	v_cndmask_b32_e64 v13, 0, 1, s0
	v_cmp_gt_i32_e64 s0, 31, v25
	v_and_b32_e32 v15, 0xffff, v15
	v_fma_f16 v16, v82, v28, -v16
	v_lshlrev_b32_e32 v27, v12, v19
	v_lshl_or_b32 v13, v13, 9, 0x7c00
	v_cndmask_b32_e64 v11, 0x7c00, v11, s0
	v_cmp_eq_u32_e64 s0, 0x40f, v25
	v_cvt_f32_f16_e32 v12, v18
	v_and_or_b32 v9, 0x1ff, v10, v9
	v_add_nc_u32_e32 v18, 0xfffffc10, v26
	v_lshrrev_b32_e32 v25, 8, v10
	v_cndmask_b32_e64 v13, v11, v13, s0
	v_cmp_ne_u32_e64 s0, v27, v17
	v_cvt_f64_f32_e32 v[11:12], v12
	v_bfe_u32 v26, v10, 20, 11
	v_lshrrev_b32_e32 v10, 16, v10
	v_and_or_b32 v13, 0x8000, v14, v13
	v_cndmask_b32_e64 v17, 0, 1, s0
	v_cmp_ne_u32_e64 s0, 0, v9
	v_lshl_or_b32 v15, v13, 16, v15
	v_or_b32_e32 v14, v19, v17
	v_cndmask_b32_e64 v9, 0, 1, s0
	v_lshl_or_b32 v17, v18, 12, v4
	v_cmp_gt_i32_e64 s0, 1, v18
	v_sub_nc_u32_e32 v19, 0x3f1, v26
	v_and_or_b32 v9, 0xffe, v25, v9
	v_cndmask_b32_e64 v14, v17, v14, s0
	v_med3_i32 v19, v19, 0, 13
	v_add_co_u32 v6, s0, v6, s8
	v_or_b32_e32 v17, 0x1000, v9
	v_and_b32_e32 v13, 7, v14
	v_mul_f64 v[11:12], v[11:12], s[4:5]
	v_add_co_ci_u32_e64 v7, s0, s9, v7, s0
	v_lshrrev_b32_e32 v22, v19, v17
	v_cmp_lt_i32_e64 s0, 5, v13
	v_cmp_eq_u32_e64 s1, 3, v13
	v_cvt_f32_f16_e32 v13, v16
	v_lshrrev_b32_e32 v16, 2, v14
	v_lshlrev_b32_e32 v19, v19, v22
	global_store_dword v[6:7], v15, off
	s_or_b32 s0, s1, s0
	v_cvt_f64_f32_e32 v[13:14], v13
	v_add_co_ci_u32_e64 v16, s0, 0, v16, s0
	v_cmp_ne_u32_e64 s2, v19, v17
	v_cmp_ne_u32_e64 s0, 0, v4
	v_add_nc_u32_e32 v19, 0xfffffc10, v26
	v_lshrrev_b32_e32 v26, 16, v8
	v_cndmask_b32_e64 v17, 0, 1, s2
	v_cndmask_b32_e64 v4, 0, 1, s0
	v_cmp_gt_i32_e64 s0, 31, v18
	v_and_or_b32 v11, 0x1ff, v12, v11
	v_bfe_u32 v25, v12, 20, 11
	v_or_b32_e32 v17, v22, v17
	v_lshl_or_b32 v22, v19, 12, v9
	v_cndmask_b32_e64 v16, 0x7c00, v16, s0
	v_cmp_gt_i32_e64 s0, 1, v19
	v_lshl_or_b32 v4, v4, 9, 0x7c00
	v_cndmask_b32_e64 v17, v22, v17, s0
	v_cmp_ne_u32_e64 s0, 0, v11
	v_lshrrev_b32_e32 v22, 8, v12
	v_mul_f64 v[13:14], v[13:14], s[4:5]
	v_cndmask_b32_e64 v11, 0, 1, s0
	v_cmp_eq_u32_e64 s0, 0x40f, v18
	v_sub_nc_u32_e32 v18, 0x3f1, v25
	v_add_nc_u32_e32 v25, 0xfffffc10, v25
	v_and_or_b32 v11, 0xffe, v22, v11
	v_cndmask_b32_e64 v4, v16, v4, s0
	v_and_b32_e32 v16, 7, v17
	v_med3_i32 v18, v18, 0, 13
	v_or_b32_e32 v22, 0x1000, v11
	v_cmp_lt_i32_e64 s0, 5, v16
	v_cmp_eq_u32_e64 s1, 3, v16
	v_and_or_b32 v16, 0x8000, v5, v4
	v_lshrrev_b32_e32 v4, 2, v17
	v_lshrrev_b32_e32 v17, v18, v22
	v_mul_f16_sdwa v5, v81, v26 dst_sel:DWORD dst_unused:UNUSED_PAD src0_sel:WORD_1 src1_sel:DWORD
	s_or_b32 s0, s1, s0
	v_and_or_b32 v13, 0x1ff, v14, v13
	v_add_co_ci_u32_e64 v4, s0, 0, v4, s0
	v_cmp_ne_u32_e64 s0, 0, v9
	v_lshlrev_b32_e32 v18, v18, v17
	v_fmac_f16_e32 v5, v81, v8
	v_bfe_u32 v28, v14, 20, 11
	v_mul_f16_sdwa v8, v81, v8 dst_sel:DWORD dst_unused:UNUSED_PAD src0_sel:WORD_1 src1_sel:DWORD
	v_cndmask_b32_e64 v9, 0, 1, s0
	v_cmp_gt_i32_e64 s0, 31, v19
	v_fma_f16 v8, v81, v26, -v8
	v_lshl_or_b32 v9, v9, 9, 0x7c00
	v_cndmask_b32_e64 v27, 0x7c00, v4, s0
	v_cmp_ne_u32_e64 s0, v18, v22
	v_cvt_f32_f16_e32 v4, v5
	v_lshrrev_b32_e32 v22, 8, v14
	v_cvt_f32_f16_e32 v8, v8
	v_cndmask_b32_e64 v18, 0, 1, s0
	v_cmp_ne_u32_e64 s0, 0, v13
	v_cvt_f64_f32_e32 v[4:5], v4
	v_or_b32_e32 v17, v17, v18
	v_cndmask_b32_e64 v13, 0, 1, s0
	v_cmp_eq_u32_e64 s0, 0x40f, v19
	v_sub_nc_u32_e32 v19, 0x3f1, v28
	v_lshl_or_b32 v18, v25, 12, v11
	v_and_or_b32 v13, 0xffe, v22, v13
	v_cndmask_b32_e64 v9, v27, v9, s0
	v_cmp_gt_i32_e64 s0, 1, v25
	v_med3_i32 v19, v19, 0, 13
	v_or_b32_e32 v22, 0x1000, v13
	v_and_or_b32 v9, 0x8000, v10, v9
	v_cndmask_b32_e64 v17, v18, v17, s0
	v_and_b32_e32 v10, 0xffff, v16
	v_lshrrev_b32_e32 v15, v19, v22
	v_and_b32_e32 v16, 7, v17
	v_mul_f64 v[4:5], v[4:5], s[4:5]
	v_lshl_or_b32 v18, v9, 16, v10
	v_lshlrev_b32_e32 v9, v19, v15
	v_lshrrev_b32_e32 v10, 2, v17
	v_cmp_lt_i32_e64 s0, 5, v16
	v_cmp_eq_u32_e64 s1, 3, v16
	v_add_nc_u32_e32 v16, 0xfffffc10, v28
	v_cmp_ne_u32_e64 s2, v9, v22
	s_or_b32 s0, s1, s0
	v_lshl_or_b32 v17, v16, 12, v13
	v_cndmask_b32_e64 v9, 0, 1, s2
	v_add_co_ci_u32_e64 v10, s0, 0, v10, s0
	v_cmp_ne_u32_e64 s0, 0, v11
	v_or_b32_e32 v15, v15, v9
	v_cvt_f64_f32_e32 v[8:9], v8
	v_cndmask_b32_e64 v11, 0, 1, s0
	v_cmp_gt_i32_e64 s0, 1, v16
	v_lshrrev_b32_e32 v22, 8, v5
	v_bfe_u32 v26, v5, 20, 11
	v_lshl_or_b32 v11, v11, 9, 0x7c00
	v_cndmask_b32_e64 v15, v17, v15, s0
	v_and_or_b32 v17, 0x1ff, v5, v4
	v_cmp_gt_i32_e64 s0, 31, v25
	ds_read2_b32 v[3:4], v3 offset0:80 offset1:132
	v_lshrrev_b32_e32 v5, 16, v5
	v_and_b32_e32 v19, 7, v15
	v_lshrrev_b32_e32 v15, 2, v15
	v_cndmask_b32_e64 v10, 0x7c00, v10, s0
	v_cmp_ne_u32_e64 s0, 0, v17
	v_cmp_eq_u32_e64 s1, 3, v19
	v_cndmask_b32_e64 v17, 0, 1, s0
	v_cmp_eq_u32_e64 s0, 0x40f, v25
	v_mul_f64 v[8:9], v[8:9], s[4:5]
	v_and_or_b32 v17, 0xffe, v22, v17
	v_cndmask_b32_e64 v10, v10, v11, s0
	v_cmp_lt_i32_e64 s0, 5, v19
	v_lshrrev_b32_e32 v11, 16, v12
	v_sub_nc_u32_e32 v12, 0x3f1, v26
	v_or_b32_e32 v19, 0x1000, v17
	s_waitcnt lgkmcnt(0)
	v_lshrrev_b32_e32 v22, 16, v3
	s_or_b32 s0, s1, s0
	v_and_or_b32 v28, 0x8000, v11, v10
	v_add_co_ci_u32_e64 v15, s0, 0, v15, s0
	v_med3_i32 v12, v12, 0, 13
	v_cmp_ne_u32_e64 s0, 0, v13
	v_mul_f16_sdwa v27, v80, v22 dst_sel:DWORD dst_unused:UNUSED_PAD src0_sel:WORD_1 src1_sel:DWORD
	v_lshrrev_b32_e32 v25, v12, v19
	v_cndmask_b32_e64 v13, 0, 1, s0
	v_cmp_gt_i32_e64 s0, 31, v16
	v_fmac_f16_e32 v27, v80, v3
	v_and_or_b32 v8, 0x1ff, v9, v8
	v_lshlrev_b32_e32 v10, v12, v25
	v_lshl_or_b32 v13, v13, 9, 0x7c00
	v_cndmask_b32_e64 v15, 0x7c00, v15, s0
	v_cmp_eq_u32_e64 s0, 0x40f, v16
	v_cvt_f32_f16_e32 v11, v27
	v_add_nc_u32_e32 v16, 0xfffffc10, v26
	v_mul_f16_sdwa v3, v80, v3 dst_sel:DWORD dst_unused:UNUSED_PAD src0_sel:WORD_1 src1_sel:DWORD
	v_cndmask_b32_e64 v12, v15, v13, s0
	v_cmp_ne_u32_e64 s0, v10, v19
	v_lshrrev_b32_e32 v13, 16, v14
	v_cvt_f64_f32_e32 v[10:11], v11
	v_lshrrev_b32_e32 v15, 8, v9
	v_bfe_u32 v19, v9, 20, 11
	v_cndmask_b32_e64 v14, 0, 1, s0
	v_cmp_ne_u32_e64 s0, 0, v8
	v_and_or_b32 v12, 0x8000, v13, v12
	v_fma_f16 v3, v80, v22, -v3
	v_or_b32_e32 v13, v25, v14
	v_cndmask_b32_e64 v8, 0, 1, s0
	v_lshl_or_b32 v14, v16, 12, v17
	v_cmp_gt_i32_e64 s0, 1, v16
	v_and_b32_e32 v25, 0xffff, v28
	v_cvt_f32_f16_e32 v3, v3
	v_and_or_b32 v8, 0xffe, v15, v8
	v_sub_nc_u32_e32 v15, 0x3f1, v19
	v_cndmask_b32_e64 v14, v14, v13, s0
	v_add_co_u32 v6, s0, v6, s6
	v_or_b32_e32 v26, 0x1000, v8
	v_med3_i32 v15, v15, 0, 13
	v_add_co_ci_u32_e64 v7, s0, s7, v7, s0
	v_and_b32_e32 v27, 7, v14
	v_mul_f64 v[10:11], v[10:11], s[4:5]
	v_lshrrev_b32_e32 v28, v15, v26
	v_lshl_or_b32 v25, v12, 16, v25
	v_add_co_u32 v12, s0, v6, s8
	v_add_co_ci_u32_e64 v13, s0, s9, v7, s0
	v_lshlrev_b32_e32 v15, v15, v28
	v_cmp_lt_i32_e64 s0, 5, v27
	v_cmp_eq_u32_e64 s1, 3, v27
	v_lshrrev_b32_e32 v14, 2, v14
	v_add_nc_u32_e32 v19, 0xfffffc10, v19
	v_cmp_ne_u32_e64 s2, v15, v26
	s_or_b32 s0, s1, s0
	v_add_co_ci_u32_e64 v22, s0, 0, v14, s0
	v_cndmask_b32_e64 v15, 0, 1, s2
	v_cmp_ne_u32_e64 s0, 0, v17
	v_lshl_or_b32 v27, v19, 12, v8
	v_and_or_b32 v10, 0x1ff, v11, v10
	v_or_b32_e32 v26, v28, v15
	v_cvt_f64_f32_e32 v[14:15], v3
	v_cndmask_b32_e64 v17, 0, 1, s0
	v_cmp_gt_i32_e64 s0, 1, v19
	ds_read2_b32 v[2:3], v2 offset0:114 offset1:166
	v_lshrrev_b32_e32 v28, 8, v11
	v_bfe_u32 v29, v11, 20, 11
	v_lshl_or_b32 v17, v17, 9, 0x7c00
	v_cndmask_b32_e64 v26, v27, v26, s0
	v_cmp_gt_i32_e64 s0, 31, v16
	global_store_dword v[6:7], v18, off
	global_store_dword v[12:13], v25, off
	v_and_b32_e32 v27, 7, v26
	v_cndmask_b32_e64 v22, 0x7c00, v22, s0
	v_cmp_ne_u32_e64 s0, 0, v10
	v_lshrrev_b32_e32 v26, 2, v26
	v_cmp_eq_u32_e64 s1, 3, v27
	v_cndmask_b32_e64 v10, 0, 1, s0
	v_cmp_eq_u32_e64 s0, 0x40f, v16
	v_mul_f64 v[14:15], v[14:15], s[4:5]
	v_and_or_b32 v10, 0xffe, v28, v10
	v_cndmask_b32_e64 v16, v22, v17, s0
	v_cmp_lt_i32_e64 s0, 5, v27
	v_sub_nc_u32_e32 v17, 0x3f1, v29
	s_waitcnt lgkmcnt(0)
	v_lshrrev_b32_e32 v22, 16, v2
	v_or_b32_e32 v27, 0x1000, v10
	v_and_or_b32 v5, 0x8000, v5, v16
	s_or_b32 s0, s1, s0
	v_med3_i32 v17, v17, 0, 13
	v_add_co_ci_u32_e64 v26, s0, 0, v26, s0
	v_cmp_ne_u32_e64 s0, 0, v8
	v_mul_f16_sdwa v28, v79, v22 dst_sel:DWORD dst_unused:UNUSED_PAD src0_sel:WORD_1 src1_sel:DWORD
	v_lshrrev_b32_e32 v30, v17, v27
	v_and_b32_e32 v5, 0xffff, v5
	v_cndmask_b32_e64 v8, 0, 1, s0
	v_cmp_gt_i32_e64 s0, 31, v19
	v_lshlrev_b32_e32 v16, v17, v30
	v_fmac_f16_e32 v28, v79, v2
	v_and_or_b32 v14, 0x1ff, v15, v14
	v_lshl_or_b32 v8, v8, 9, 0x7c00
	v_cndmask_b32_e64 v26, 0x7c00, v26, s0
	v_cmp_eq_u32_e64 s0, 0x40f, v19
	v_cvt_f32_f16_e32 v17, v28
	v_bfe_u32 v28, v15, 20, 11
	v_mul_f16_sdwa v2, v79, v2 dst_sel:DWORD dst_unused:UNUSED_PAD src0_sel:WORD_1 src1_sel:DWORD
	v_cndmask_b32_e64 v19, v26, v8, s0
	v_cmp_ne_u32_e64 s0, v16, v27
	v_lshrrev_b32_e32 v26, 16, v9
	v_cvt_f64_f32_e32 v[8:9], v17
	v_add_nc_u32_e32 v17, 0xfffffc10, v29
	v_lshrrev_b32_e32 v27, 8, v15
	v_cndmask_b32_e64 v16, 0, 1, s0
	v_cmp_ne_u32_e64 s0, 0, v14
	v_and_or_b32 v19, 0x8000, v26, v19
	v_lshl_or_b32 v26, v17, 12, v10
	v_fma_f16 v2, v79, v22, -v2
	v_or_b32_e32 v16, v30, v16
	v_cndmask_b32_e64 v14, 0, 1, s0
	v_cmp_gt_i32_e64 s0, 1, v17
	v_lshl_or_b32 v18, v19, 16, v5
	v_cvt_f32_f16_e32 v2, v2
	v_and_or_b32 v14, 0xffe, v27, v14
	v_sub_nc_u32_e32 v27, 0x3f1, v28
	v_cndmask_b32_e64 v16, v26, v16, s0
	v_add_co_u32 v7, s0, v12, s6
	v_or_b32_e32 v26, 0x1000, v14
	v_med3_i32 v27, v27, 0, 13
	v_and_b32_e32 v19, 7, v16
	v_mul_f64 v[5:6], v[8:9], s[4:5]
	v_add_co_ci_u32_e64 v8, s0, s7, v13, s0
	v_lshrrev_b32_e32 v25, v27, v26
	v_cmp_lt_i32_e64 s0, 5, v19
	v_cmp_eq_u32_e64 s1, 3, v19
	v_lshrrev_b32_e32 v12, 2, v16
	v_add_nc_u32_e32 v13, 0xfffffc10, v28
	v_lshlrev_b32_e32 v9, v27, v25
	v_lshrrev_b32_e32 v27, 16, v11
	s_or_b32 s0, s1, s0
	global_store_dword v[7:8], v18, off
	v_add_co_ci_u32_e64 v12, s0, 0, v12, s0
	v_cmp_ne_u32_e64 s2, v9, v26
	v_cmp_ne_u32_e64 s0, 0, v10
	v_lshl_or_b32 v19, v13, 12, v14
	v_cndmask_b32_e64 v9, 0, 1, s2
	v_cndmask_b32_e64 v22, 0, 1, s0
	v_cmp_gt_i32_e64 s0, 1, v13
	v_and_or_b32 v5, 0x1ff, v6, v5
	v_or_b32_e32 v16, v25, v9
	v_cvt_f64_f32_e32 v[9:10], v2
	v_bfe_u32 v25, v6, 20, 11
	v_cndmask_b32_e64 v2, v19, v16, s0
	v_cmp_gt_i32_e64 s0, 31, v17
	v_lshl_or_b32 v16, v22, 9, 0x7c00
	v_lshrrev_b32_e32 v22, 8, v6
	v_lshrrev_b32_e32 v6, 16, v6
	v_and_b32_e32 v19, 7, v2
	v_cndmask_b32_e64 v12, 0x7c00, v12, s0
	v_cmp_ne_u32_e64 s0, 0, v5
	v_lshrrev_b32_e32 v2, 2, v2
	v_cmp_eq_u32_e64 s1, 3, v19
	v_cndmask_b32_e64 v5, 0, 1, s0
	v_cmp_eq_u32_e64 s0, 0x40f, v17
	v_lshrrev_b32_e32 v17, 16, v4
	v_and_or_b32 v5, 0xffe, v22, v5
	v_cndmask_b32_e64 v16, v12, v16, s0
	v_cmp_lt_i32_e64 s0, 5, v19
	v_mul_f64 v[9:10], v[9:10], s[4:5]
	v_sub_nc_u32_e32 v12, 0x3f1, v25
	v_or_b32_e32 v19, 0x1000, v5
	v_mul_f16_sdwa v22, v78, v17 dst_sel:DWORD dst_unused:UNUSED_PAD src0_sel:WORD_1 src1_sel:DWORD
	s_or_b32 s0, s1, s0
	v_and_or_b32 v16, 0x8000, v27, v16
	v_add_co_ci_u32_e64 v2, s0, 0, v2, s0
	v_med3_i32 v12, v12, 0, 13
	v_cmp_ne_u32_e64 s0, 0, v14
	v_fmac_f16_e32 v22, v78, v4
	v_and_b32_e32 v16, 0xffff, v16
	v_mul_f16_sdwa v4, v78, v4 dst_sel:DWORD dst_unused:UNUSED_PAD src0_sel:WORD_1 src1_sel:DWORD
	v_lshrrev_b32_e32 v26, v12, v19
	v_cndmask_b32_e64 v14, 0, 1, s0
	v_cmp_gt_i32_e64 s0, 31, v13
	v_cvt_f32_f16_e32 v11, v22
	v_fma_f16 v4, v78, v17, -v4
	v_lshlrev_b32_e32 v22, v12, v26
	v_lshl_or_b32 v14, v14, 9, 0x7c00
	v_cndmask_b32_e64 v2, 0x7c00, v2, s0
	v_cmp_eq_u32_e64 s0, 0x40f, v13
	v_and_or_b32 v9, 0x1ff, v10, v9
	v_lshrrev_b32_e32 v13, 16, v15
	v_add_nc_u32_e32 v15, 0xfffffc10, v25
	v_cvt_f64_f32_e32 v[11:12], v11
	v_cndmask_b32_e64 v2, v2, v14, s0
	v_cmp_ne_u32_e64 s0, v22, v19
	v_lshrrev_b32_e32 v19, 8, v10
	v_bfe_u32 v22, v10, 20, 11
	v_cvt_f32_f16_e32 v4, v4
	v_and_or_b32 v2, 0x8000, v13, v2
	v_cndmask_b32_e64 v14, 0, 1, s0
	v_cmp_ne_u32_e64 s0, 0, v9
	v_lshrrev_b32_e32 v10, 16, v10
	v_lshl_or_b32 v2, v2, 16, v16
	v_or_b32_e32 v13, v26, v14
	v_lshl_or_b32 v14, v15, 12, v5
	v_cndmask_b32_e64 v9, 0, 1, s0
	v_cmp_gt_i32_e64 s0, 1, v15
	v_and_or_b32 v9, 0xffe, v19, v9
	v_cndmask_b32_e64 v13, v14, v13, s0
	v_sub_nc_u32_e32 v14, 0x3f1, v22
	v_add_co_u32 v7, s0, v7, s8
	v_or_b32_e32 v18, 0x1000, v9
	v_and_b32_e32 v16, 7, v13
	v_med3_i32 v14, v14, 0, 13
	v_add_co_ci_u32_e64 v8, s0, s9, v8, s0
	v_mul_f64 v[11:12], v[11:12], s[4:5]
	v_cmp_lt_i32_e64 s0, 5, v16
	v_lshrrev_b32_e32 v19, v14, v18
	v_cmp_eq_u32_e64 s1, 3, v16
	global_store_dword v[7:8], v2, off
	v_lshrrev_b32_e32 v2, 2, v13
	v_add_nc_u32_e32 v16, 0xfffffc10, v22
	v_lshlrev_b32_e32 v13, v14, v19
	s_or_b32 s0, s1, s0
	v_add_co_ci_u32_e64 v2, s0, 0, v2, s0
	v_cmp_ne_u32_e64 s0, v13, v18
	v_lshl_or_b32 v17, v16, 12, v9
	v_cndmask_b32_e64 v13, 0, 1, s0
	v_cmp_ne_u32_e64 s0, 0, v5
	v_cvt_f64_f32_e32 v[4:5], v4
	v_or_b32_e32 v13, v19, v13
	v_cndmask_b32_e64 v14, 0, 1, s0
	v_cmp_gt_i32_e64 s0, 31, v15
	v_and_or_b32 v11, 0x1ff, v12, v11
	v_bfe_u32 v18, v12, 20, 11
	v_lshl_or_b32 v14, v14, 9, 0x7c00
	v_cndmask_b32_e64 v2, 0x7c00, v2, s0
	v_cmp_gt_i32_e64 s0, 1, v16
	v_cndmask_b32_e64 v13, v17, v13, s0
	v_cmp_ne_u32_e64 s0, 0, v11
	v_lshrrev_b32_e32 v17, 8, v12
	v_lshrrev_b32_e32 v12, 16, v12
	v_cndmask_b32_e64 v11, 0, 1, s0
	v_cmp_eq_u32_e64 s0, 0x40f, v15
	v_sub_nc_u32_e32 v15, 0x3f1, v18
	v_mul_f64 v[4:5], v[4:5], s[4:5]
	v_add_nc_u32_e32 v18, 0xfffffc10, v18
	v_and_or_b32 v11, 0xffe, v17, v11
	v_cndmask_b32_e64 v2, v2, v14, s0
	v_and_b32_e32 v14, 7, v13
	v_lshrrev_b32_e32 v17, 16, v3
	v_med3_i32 v15, v15, 0, 13
	v_or_b32_e32 v19, 0x1000, v11
	v_and_or_b32 v2, 0x8000, v6, v2
	v_cmp_lt_i32_e64 s0, 5, v14
	v_cmp_eq_u32_e64 s1, 3, v14
	v_lshrrev_b32_e32 v6, 2, v13
	v_mul_f16_sdwa v22, v77, v17 dst_sel:DWORD dst_unused:UNUSED_PAD src0_sel:WORD_1 src1_sel:DWORD
	v_lshrrev_b32_e32 v25, v15, v19
	v_and_b32_e32 v2, 0xffff, v2
	s_or_b32 s0, s1, s0
	v_add_co_ci_u32_e64 v6, s0, 0, v6, s0
	v_cmp_ne_u32_e64 s0, 0, v9
	v_fmac_f16_e32 v22, v77, v3
	v_lshlrev_b32_e32 v15, v15, v25
	v_and_or_b32 v4, 0x1ff, v5, v4
	v_mul_f16_sdwa v3, v77, v3 dst_sel:DWORD dst_unused:UNUSED_PAD src0_sel:WORD_1 src1_sel:DWORD
	v_cndmask_b32_e64 v9, 0, 1, s0
	v_cmp_gt_i32_e64 s0, 31, v16
	v_cvt_f32_f16_e32 v13, v22
	v_lshl_or_b32 v9, v9, 9, 0x7c00
	v_cndmask_b32_e64 v6, 0x7c00, v6, s0
	v_cmp_ne_u32_e64 s0, v15, v19
	v_cvt_f64_f32_e32 v[13:14], v13
	v_bfe_u32 v19, v5, 20, 11
	v_cndmask_b32_e64 v15, 0, 1, s0
	v_cmp_eq_u32_e64 s0, 0x40f, v16
	v_lshrrev_b32_e32 v16, 8, v5
	v_cndmask_b32_e64 v6, v6, v9, s0
	v_cmp_ne_u32_e64 s0, 0, v4
	v_or_b32_e32 v9, v25, v15
	v_lshl_or_b32 v15, v18, 12, v11
	v_and_or_b32 v6, 0x8000, v10, v6
	v_cndmask_b32_e64 v4, 0, 1, s0
	v_cmp_gt_i32_e64 s0, 1, v18
	v_lshl_or_b32 v26, v6, 16, v2
	v_and_or_b32 v4, 0xffe, v16, v4
	v_cndmask_b32_e64 v15, v15, v9, s0
	v_sub_nc_u32_e32 v9, 0x3f1, v19
	v_add_co_u32 v2, s2, v7, s6
	v_or_b32_e32 v22, 0x1000, v4
	v_and_b32_e32 v16, 7, v15
	v_med3_i32 v25, v9, 0, 13
	v_mul_f64 v[9:10], v[13:14], s[4:5]
	v_lshrrev_b32_e32 v7, 2, v15
	v_fma_f16 v6, v77, v17, -v3
	v_cmp_lt_i32_e64 s0, 5, v16
	v_cmp_eq_u32_e64 s1, 3, v16
	v_lshrrev_b32_e32 v16, v25, v22
	v_add_co_ci_u32_e64 v3, s2, s7, v8, s2
	v_cvt_f32_f16_e32 v13, v6
	s_or_b32 s0, s1, s0
	v_lshlrev_b32_e32 v8, v25, v16
	v_add_co_ci_u32_e64 v15, s0, 0, v7, s0
	ds_read2_b32 v[6:7], v1 offset0:56 offset1:108
	v_cvt_f64_f32_e32 v[13:14], v13
	v_cmp_ne_u32_e64 s0, v8, v22
	v_add_nc_u32_e32 v17, 0xfffffc10, v19
	global_store_dword v[2:3], v26, off
	v_cndmask_b32_e64 v8, 0, 1, s0
	v_cmp_gt_i32_e64 s0, 31, v18
	v_and_or_b32 v9, 0x1ff, v10, v9
	v_bfe_u32 v22, v10, 20, 11
	v_lshrrev_b32_e32 v19, 8, v10
	v_or_b32_e32 v8, v16, v8
	v_cndmask_b32_e64 v15, 0x7c00, v15, s0
	v_cmp_ne_u32_e64 s0, 0, v9
	v_lshl_or_b32 v16, v17, 12, v4
	v_lshrrev_b32_e32 v10, 16, v10
	v_cndmask_b32_e64 v9, 0, 1, s0
	v_cmp_ne_u32_e64 s0, 0, v11
	s_waitcnt lgkmcnt(0)
	v_lshrrev_b32_e32 v25, 16, v6
	v_and_or_b32 v19, 0xffe, v19, v9
	v_cndmask_b32_e64 v11, 0, 1, s0
	v_cmp_gt_i32_e64 s0, 1, v17
	v_or_b32_e32 v28, 0x1000, v19
	v_lshl_or_b32 v11, v11, 9, 0x7c00
	v_cndmask_b32_e64 v16, v16, v8, s0
	v_sub_nc_u32_e32 v8, 0x3f1, v22
	v_cmp_eq_u32_e64 s0, 0x40f, v18
	v_add_nc_u32_e32 v18, 0xfffffc10, v22
	v_and_b32_e32 v27, 7, v16
	v_med3_i32 v29, v8, 0, 13
	v_mul_f64 v[8:9], v[13:14], s[4:5]
	v_cndmask_b32_e64 v11, v15, v11, s0
	v_mul_f16_sdwa v13, v76, v25 dst_sel:DWORD dst_unused:UNUSED_PAD src0_sel:WORD_1 src1_sel:DWORD
	v_cmp_lt_i32_e64 s0, 5, v27
	v_cmp_eq_u32_e64 s1, 3, v27
	v_lshrrev_b32_e32 v14, v29, v28
	v_and_or_b32 v15, 0x8000, v12, v11
	v_lshrrev_b32_e32 v11, 2, v16
	v_fmac_f16_e32 v13, v76, v6
	s_or_b32 s0, s1, s0
	v_mul_f16_sdwa v6, v76, v6 dst_sel:DWORD dst_unused:UNUSED_PAD src0_sel:WORD_1 src1_sel:DWORD
	v_and_b32_e32 v15, 0xffff, v15
	v_add_co_ci_u32_e64 v16, s0, 0, v11, s0
	v_cvt_f32_f16_e32 v12, v13
	v_lshlrev_b32_e32 v13, v29, v14
	v_cmp_ne_u32_e64 s0, 0, v4
	v_fma_f16 v6, v76, v25, -v6
	v_cvt_f64_f32_e32 v[11:12], v12
	v_cndmask_b32_e64 v4, 0, 1, s0
	v_cmp_ne_u32_e64 s0, v13, v28
	v_and_or_b32 v8, 0x1ff, v9, v8
	v_lshrrev_b32_e32 v22, 8, v9
	v_cvt_f32_f16_e32 v6, v6
	v_lshl_or_b32 v4, v4, 9, 0x7c00
	v_cndmask_b32_e64 v13, 0, 1, s0
	v_cmp_gt_i32_e64 s0, 31, v17
	v_or_b32_e32 v13, v14, v13
	v_cndmask_b32_e64 v16, 0x7c00, v16, s0
	v_cmp_ne_u32_e64 s0, 0, v8
	v_lshl_or_b32 v14, v18, 12, v19
	v_cndmask_b32_e64 v8, 0, 1, s0
	v_cmp_eq_u32_e64 s0, 0x40f, v17
	v_bfe_u32 v17, v9, 20, 11
	v_and_or_b32 v8, 0xffe, v22, v8
	v_cndmask_b32_e64 v16, v16, v4, s0
	v_cmp_gt_i32_e64 s0, 1, v18
	v_sub_nc_u32_e32 v22, 0x3f1, v17
	v_add_nc_u32_e32 v17, 0xfffffc10, v17
	v_or_b32_e32 v27, 0x1000, v8
	v_cndmask_b32_e64 v13, v14, v13, s0
	v_lshrrev_b32_e32 v14, 16, v5
	v_mul_f64 v[4:5], v[11:12], s[4:5]
	v_med3_i32 v12, v22, 0, 13
	v_and_b32_e32 v11, 7, v13
	v_and_or_b32 v14, 0x8000, v14, v16
	v_lshrrev_b32_e32 v16, v12, v27
	v_cmp_lt_i32_e64 s0, 5, v11
	v_cmp_eq_u32_e64 s1, 3, v11
	v_lshrrev_b32_e32 v11, 2, v13
	v_lshlrev_b32_e32 v13, v12, v16
	v_lshl_or_b32 v22, v14, 16, v15
	v_lshl_or_b32 v15, v17, 12, v8
	s_or_b32 s0, s1, s0
	v_add_co_ci_u32_e64 v14, s0, 0, v11, s0
	v_cmp_ne_u32_e64 s0, v13, v27
	v_cvt_f64_f32_e32 v[11:12], v6
	v_and_or_b32 v4, 0x1ff, v5, v4
	v_cndmask_b32_e64 v6, 0, 1, s0
	v_cmp_ne_u32_e64 s0, 0, v19
	v_bfe_u32 v19, v5, 20, 11
	v_or_b32_e32 v6, v16, v6
	v_cndmask_b32_e64 v13, 0, 1, s0
	v_cmp_ne_u32_e64 s0, 0, v4
	v_lshrrev_b32_e32 v16, 8, v5
	v_sub_nc_u32_e32 v25, 0x3f1, v19
	v_add_nc_u32_e32 v19, 0xfffffc10, v19
	v_lshrrev_b32_e32 v5, 16, v5
	v_cndmask_b32_e64 v4, 0, 1, s0
	v_cmp_gt_i32_e64 s0, 1, v17
	v_med3_i32 v25, v25, 0, 13
	v_and_or_b32 v4, 0xffe, v16, v4
	v_cndmask_b32_e64 v6, v15, v6, s0
	v_cmp_gt_i32_e64 s0, 31, v18
	v_mul_f64 v[11:12], v[11:12], s[4:5]
	v_lshl_or_b32 v16, v13, 9, 0x7c00
	v_or_b32_e32 v28, 0x1000, v4
	v_and_b32_e32 v27, 7, v6
	v_cndmask_b32_e64 v15, 0x7c00, v14, s0
	v_cmp_eq_u32_e64 s0, 0x40f, v18
	ds_read2_b32 v[13:14], v0 offset0:90 offset1:142
	v_lshrrev_b32_e32 v6, 2, v6
	v_cmp_eq_u32_e64 s1, 3, v27
	v_cndmask_b32_e64 v18, v15, v16, s0
	v_cmp_lt_i32_e64 s0, 5, v27
	v_lshrrev_b32_e32 v27, v25, v28
	v_add_co_u32 v15, s2, v2, s8
	v_and_or_b32 v18, 0x8000, v10, v18
	s_or_b32 s0, s1, s0
	v_lshlrev_b32_e32 v10, v25, v27
	v_add_co_ci_u32_e64 v6, s0, 0, v6, s0
	v_and_b32_e32 v18, 0xffff, v18
	v_add_co_ci_u32_e64 v16, s2, s9, v3, s2
	v_cmp_ne_u32_e64 s0, v10, v28
	v_and_or_b32 v11, 0x1ff, v12, v11
	v_lshrrev_b32_e32 v29, 8, v12
	s_waitcnt lgkmcnt(0)
	v_lshrrev_b32_e32 v25, 16, v13
	v_bfe_u32 v30, v12, 20, 11
	v_cndmask_b32_e64 v10, 0, 1, s0
	v_cmp_ne_u32_e64 s0, 0, v8
	global_store_dword v[15:16], v22, off
	v_mul_f16_sdwa v28, v75, v25 dst_sel:DWORD dst_unused:UNUSED_PAD src0_sel:WORD_1 src1_sel:DWORD
	v_sub_nc_u32_e32 v31, 0x3f1, v30
	v_or_b32_e32 v10, v27, v10
	v_cndmask_b32_e64 v8, 0, 1, s0
	v_cmp_ne_u32_e64 s0, 0, v11
	v_lshl_or_b32 v27, v19, 12, v4
	v_fmac_f16_e32 v28, v75, v13
	v_med3_i32 v31, v31, 0, 13
	v_lshl_or_b32 v8, v8, 9, 0x7c00
	v_cndmask_b32_e64 v11, 0, 1, s0
	v_cmp_gt_i32_e64 s0, 1, v19
	v_cvt_f32_f16_e32 v28, v28
	v_lshrrev_b32_e32 v12, 16, v12
	v_and_or_b32 v29, 0xffe, v29, v11
	v_cndmask_b32_e64 v27, v27, v10, s0
	v_cmp_gt_i32_e64 s0, 31, v17
	v_cvt_f64_f32_e32 v[10:11], v28
	v_or_b32_e32 v32, 0x1000, v29
	v_and_b32_e32 v28, 7, v27
	v_cndmask_b32_e64 v6, 0x7c00, v6, s0
	v_cmp_eq_u32_e64 s0, 0x40f, v17
	v_cmp_eq_u32_e64 s1, 3, v28
	v_cndmask_b32_e64 v6, v6, v8, s0
	v_lshrrev_b32_e32 v8, 16, v9
	v_mul_f16_sdwa v9, v75, v13 dst_sel:DWORD dst_unused:UNUSED_PAD src0_sel:WORD_1 src1_sel:DWORD
	v_lshrrev_b32_e32 v13, v31, v32
	v_cmp_lt_i32_e64 s0, 5, v28
	v_add_nc_u32_e32 v28, 0xfffffc10, v30
	v_and_or_b32 v6, 0x8000, v8, v6
	v_lshrrev_b32_e32 v8, 2, v27
	v_lshlrev_b32_e32 v17, v31, v13
	s_or_b32 s0, s1, s0
	v_fma_f16 v9, v75, v25, -v9
	v_add_co_ci_u32_e64 v25, s0, 0, v8, s0
	v_cmp_ne_u32_e64 s0, v17, v32
	v_cvt_f32_f16_e32 v27, v9
	v_mul_f64 v[8:9], v[10:11], s[4:5]
	v_cndmask_b32_e64 v17, 0, 1, s0
	v_cmp_ne_u32_e64 s0, 0, v4
	v_cvt_f64_f32_e32 v[10:11], v27
	v_or_b32_e32 v13, v13, v17
	v_cndmask_b32_e64 v4, 0, 1, s0
	v_cmp_gt_i32_e64 s0, 31, v19
	v_lshl_or_b32 v17, v28, 12, v29
	v_lshl_or_b32 v4, v4, 9, 0x7c00
	v_cndmask_b32_e64 v25, 0x7c00, v25, s0
	v_cmp_gt_i32_e64 s0, 1, v28
	v_cndmask_b32_e64 v13, v17, v13, s0
	v_cmp_eq_u32_e64 s0, 0x40f, v19
	v_lshl_or_b32 v17, v6, 16, v18
	v_and_b32_e32 v2, 7, v13
	v_cndmask_b32_e64 v4, v25, v4, s0
	v_cmp_lt_i32_e64 s0, 5, v2
	v_and_or_b32 v6, 0x8000, v5, v4
	v_and_or_b32 v4, 0x1ff, v9, v8
	v_cmp_eq_u32_e64 s1, 3, v2
	v_mul_f64 v[2:3], v[10:11], s[4:5]
	v_lshrrev_b32_e32 v5, 2, v13
	v_lshrrev_b32_e32 v8, 8, v9
	v_cmp_ne_u32_e64 s2, 0, v4
	v_bfe_u32 v10, v9, 20, 11
	s_or_b32 s0, s1, s0
	v_lshrrev_b32_e32 v13, 16, v7
	v_add_co_ci_u32_e64 v5, s0, 0, v5, s0
	v_cndmask_b32_e64 v4, 0, 1, s2
	v_cmp_ne_u32_e64 s0, 0, v29
	v_mul_f16_sdwa v19, v74, v13 dst_sel:DWORD dst_unused:UNUSED_PAD src0_sel:WORD_1 src1_sel:DWORD
	v_and_b32_e32 v6, 0xffff, v6
	v_and_or_b32 v8, 0xffe, v8, v4
	v_sub_nc_u32_e32 v4, 0x3f1, v10
	v_cndmask_b32_e64 v11, 0, 1, s0
	v_cmp_gt_i32_e64 s0, 31, v28
	v_fmac_f16_e32 v19, v74, v7
	v_or_b32_e32 v18, 0x1000, v8
	v_med3_i32 v4, v4, 0, 13
	v_lshl_or_b32 v11, v11, 9, 0x7c00
	v_cndmask_b32_e64 v5, 0x7c00, v5, s0
	v_and_or_b32 v2, 0x1ff, v3, v2
	v_cmp_eq_u32_e64 s0, 0x40f, v28
	v_lshrrev_b32_e32 v22, v4, v18
	v_bfe_u32 v26, v3, 20, 11
	v_cndmask_b32_e64 v11, v5, v11, s0
	v_lshlrev_b32_e32 v25, v4, v22
	v_cmp_ne_u32_e64 s0, 0, v2
	v_cvt_f32_f16_e32 v4, v19
	v_lshrrev_b32_e32 v19, 8, v3
	v_and_or_b32 v12, 0x8000, v12, v11
	v_cndmask_b32_e64 v2, 0, 1, s0
	v_cmp_ne_u32_e64 s0, v25, v18
	v_cvt_f64_f32_e32 v[4:5], v4
	v_add_nc_u32_e32 v25, 0xfffffc10, v10
	v_sub_nc_u32_e32 v10, 0x3f1, v26
	v_and_or_b32 v2, 0xffe, v19, v2
	v_cndmask_b32_e64 v18, 0, 1, s0
	v_lshl_or_b32 v19, v25, 12, v8
	v_med3_i32 v27, v10, 0, 13
	v_cmp_gt_i32_e64 s0, 1, v25
	v_or_b32_e32 v18, v22, v18
	v_or_b32_e32 v22, 0x1000, v2
	v_cndmask_b32_e64 v18, v19, v18, s0
	v_lshrrev_b32_e32 v19, v27, v22
	v_add_co_u32 v10, s0, v15, s6
	v_add_co_ci_u32_e64 v11, s0, s7, v16, s0
	v_lshlrev_b32_e32 v16, v27, v19
	v_lshl_or_b32 v15, v12, 16, v6
	v_and_b32_e32 v12, 7, v18
	v_mul_f64 v[4:5], v[4:5], s[4:5]
	v_mul_f16_sdwa v27, v74, v7 dst_sel:DWORD dst_unused:UNUSED_PAD src0_sel:WORD_1 src1_sel:DWORD
	v_cmp_ne_u32_e64 s1, v16, v22
	v_add_co_u32 v6, s0, v10, s8
	v_add_co_ci_u32_e64 v7, s0, s9, v11, s0
	v_cmp_lt_i32_e64 s0, 5, v12
	v_cndmask_b32_e64 v16, 0, 1, s1
	v_cmp_eq_u32_e64 s1, 3, v12
	v_fma_f16 v13, v74, v13, -v27
	v_lshrrev_b32_e32 v18, 2, v18
	v_add_nc_u32_e32 v22, 0xfffffc10, v26
	v_or_b32_e32 v16, v19, v16
	s_or_b32 s0, s1, s0
	v_cvt_f32_f16_e32 v13, v13
	v_add_co_ci_u32_e64 v18, s0, 0, v18, s0
	v_cmp_ne_u32_e64 s0, 0, v8
	v_lshl_or_b32 v19, v22, 12, v2
	v_cvt_f64_f32_e32 v[12:13], v13
	global_store_dword v[10:11], v17, off
	global_store_dword v[6:7], v15, off
	v_and_or_b32 v4, 0x1ff, v5, v4
	v_cndmask_b32_e64 v8, 0, 1, s0
	v_cmp_gt_i32_e64 s0, 1, v22
	v_lshrrev_b32_e32 v26, 8, v5
	v_bfe_u32 v27, v5, 20, 11
	v_lshl_or_b32 v8, v8, 9, 0x7c00
	v_cndmask_b32_e64 v16, v19, v16, s0
	v_cmp_gt_i32_e64 s0, 31, v25
	v_and_b32_e32 v19, 7, v16
	v_cndmask_b32_e64 v18, 0x7c00, v18, s0
	v_cmp_ne_u32_e64 s0, 0, v4
	v_cmp_eq_u32_e64 s1, 3, v19
	v_cndmask_b32_e64 v4, 0, 1, s0
	v_cmp_eq_u32_e64 s0, 0x40f, v25
	v_lshrrev_b32_e32 v25, 16, v9
	v_and_or_b32 v4, 0xffe, v26, v4
	v_cndmask_b32_e64 v18, v18, v8, s0
	v_cmp_lt_i32_e64 s0, 5, v19
	v_mul_f64 v[8:9], v[12:13], s[4:5]
	v_lshrrev_b32_e32 v13, 2, v16
	v_sub_nc_u32_e32 v26, 0x3f1, v27
	v_or_b32_e32 v16, 0x1000, v4
	s_or_b32 s0, s1, s0
	v_lshrrev_b32_e32 v12, 16, v14
	v_add_co_ci_u32_e64 v13, s0, 0, v13, s0
	v_med3_i32 v19, v26, 0, 13
	v_cmp_ne_u32_e64 s0, 0, v2
	v_mul_f16_sdwa v26, v73, v12 dst_sel:DWORD dst_unused:UNUSED_PAD src0_sel:WORD_1 src1_sel:DWORD
	v_and_or_b32 v18, 0x8000, v25, v18
	v_lshrrev_b32_e32 v28, v19, v16
	v_cndmask_b32_e64 v2, 0, 1, s0
	v_cmp_gt_i32_e64 s0, 31, v22
	v_fmac_f16_e32 v26, v73, v14
	v_mul_f16_sdwa v14, v73, v14 dst_sel:DWORD dst_unused:UNUSED_PAD src0_sel:WORD_1 src1_sel:DWORD
	v_lshlrev_b32_e32 v19, v19, v28
	v_lshl_or_b32 v2, v2, 9, 0x7c00
	v_cndmask_b32_e64 v13, 0x7c00, v13, s0
	v_cmp_eq_u32_e64 s0, 0x40f, v22
	v_and_or_b32 v8, 0x1ff, v9, v8
	v_cvt_f32_f16_e32 v25, v26
	v_lshrrev_b32_e32 v22, 16, v3
	v_bfe_u32 v26, v9, 20, 11
	v_cndmask_b32_e64 v13, v13, v2, s0
	v_cmp_ne_u32_e64 s0, v19, v16
	v_cvt_f64_f32_e32 v[2:3], v25
	v_add_nc_u32_e32 v19, 0xfffffc10, v27
	v_lshrrev_b32_e32 v25, 8, v9
	v_and_or_b32 v13, 0x8000, v22, v13
	v_cndmask_b32_e64 v16, 0, 1, s0
	v_cmp_ne_u32_e64 s0, 0, v8
	v_lshl_or_b32 v22, v19, 12, v4
	v_fma_f16 v12, v73, v12, -v14
	v_add_nc_u32_e32 v14, 0xfffffc10, v26
	v_or_b32_e32 v16, v28, v16
	v_cndmask_b32_e64 v8, 0, 1, s0
	v_cmp_gt_i32_e64 s0, 1, v19
	v_and_b32_e32 v18, 0xffff, v18
	v_and_or_b32 v8, 0xffe, v25, v8
	v_sub_nc_u32_e32 v25, 0x3f1, v26
	v_cndmask_b32_e64 v16, v22, v16, s0
	v_add_co_u32 v6, s0, v6, s6
	v_or_b32_e32 v22, 0x1000, v8
	v_med3_i32 v25, v25, 0, 13
	v_and_b32_e32 v10, 7, v16
	v_mul_f64 v[2:3], v[2:3], s[4:5]
	v_add_co_ci_u32_e64 v7, s0, s7, v7, s0
	v_lshrrev_b32_e32 v11, v25, v22
	v_cmp_lt_i32_e64 s0, 5, v10
	v_cmp_eq_u32_e64 s1, 3, v10
	v_lshrrev_b32_e32 v10, 2, v16
	v_lshl_or_b32 v13, v13, 16, v18
	v_lshlrev_b32_e32 v15, v25, v11
	s_or_b32 s0, s1, s0
	v_add_co_ci_u32_e64 v16, s0, 0, v10, s0
	v_cmp_ne_u32_e64 s2, v15, v22
	v_cmp_ne_u32_e64 s0, 0, v4
	v_cvt_f32_f16_e32 v10, v12
	global_store_dword v[6:7], v13, off
	v_cndmask_b32_e64 v15, 0, 1, s2
	v_cndmask_b32_e64 v4, 0, 1, s0
	v_cmp_gt_i32_e64 s0, 1, v14
	v_bfe_u32 v22, v3, 20, 11
	v_lshrrev_b32_e32 v18, 8, v3
	v_or_b32_e32 v12, v11, v15
	v_lshl_or_b32 v15, v14, 12, v8
	v_cvt_f64_f32_e32 v[10:11], v10
	v_lshl_or_b32 v4, v4, 9, 0x7c00
	v_cndmask_b32_e64 v12, v15, v12, s0
	v_and_or_b32 v15, 0x1ff, v3, v2
	v_cmp_gt_i32_e64 s0, 31, v19
	ds_read2_b32 v[1:2], v1 offset0:160 offset1:212
	v_and_b32_e32 v17, 7, v12
	v_lshrrev_b32_e32 v12, 2, v12
	v_cndmask_b32_e64 v16, 0x7c00, v16, s0
	v_cmp_ne_u32_e64 s0, 0, v15
	v_cmp_eq_u32_e64 s1, 3, v17
	v_cndmask_b32_e64 v15, 0, 1, s0
	v_cmp_eq_u32_e64 s0, 0x40f, v19
	v_lshrrev_b32_e32 v19, 16, v5
	v_and_or_b32 v15, 0xffe, v18, v15
	v_cndmask_b32_e64 v16, v16, v4, s0
	v_sub_nc_u32_e32 v4, 0x3f1, v22
	v_cmp_lt_i32_e64 s0, 5, v17
	v_or_b32_e32 v17, 0x1000, v15
	v_and_or_b32 v16, 0x8000, v19, v16
	v_med3_i32 v18, v4, 0, 13
	v_mul_f64 v[4:5], v[10:11], s[4:5]
	s_or_b32 s0, s1, s0
	s_waitcnt lgkmcnt(0)
	v_lshrrev_b32_e32 v10, 16, v1
	v_add_co_ci_u32_e64 v11, s0, 0, v12, s0
	v_cmp_ne_u32_e64 s0, 0, v8
	v_lshrrev_b32_e32 v12, v18, v17
	v_mul_f16_sdwa v25, v72, v10 dst_sel:DWORD dst_unused:UNUSED_PAD src0_sel:WORD_1 src1_sel:DWORD
	v_and_b32_e32 v16, 0xffff, v16
	v_cndmask_b32_e64 v8, 0, 1, s0
	v_cmp_gt_i32_e64 s0, 31, v14
	v_lshlrev_b32_e32 v18, v18, v12
	v_fmac_f16_e32 v25, v72, v1
	v_mul_f16_sdwa v1, v72, v1 dst_sel:DWORD dst_unused:UNUSED_PAD src0_sel:WORD_1 src1_sel:DWORD
	v_lshl_or_b32 v8, v8, 9, 0x7c00
	v_cndmask_b32_e64 v11, 0x7c00, v11, s0
	v_cmp_eq_u32_e64 s0, 0x40f, v14
	v_lshrrev_b32_e32 v14, 16, v9
	v_fma_f16 v1, v72, v10, -v1
	v_cndmask_b32_e64 v11, v11, v8, s0
	v_cmp_ne_u32_e64 s0, v18, v17
	v_and_or_b32 v4, 0x1ff, v5, v4
	v_cvt_f32_f16_e32 v8, v25
	v_add_nc_u32_e32 v18, 0xfffffc10, v22
	v_and_or_b32 v11, 0x8000, v14, v11
	v_cndmask_b32_e64 v17, 0, 1, s0
	v_cmp_ne_u32_e64 s0, 0, v4
	v_cvt_f64_f32_e32 v[8:9], v8
	v_lshl_or_b32 v14, v18, 12, v15
	v_bfe_u32 v19, v5, 20, 11
	v_or_b32_e32 v12, v12, v17
	v_cndmask_b32_e64 v4, 0, 1, s0
	v_lshrrev_b32_e32 v17, 8, v5
	v_cmp_gt_i32_e64 s0, 1, v18
	v_lshl_or_b32 v11, v11, 16, v16
	v_cvt_f32_f16_e32 v10, v1
	ds_read2_b32 v[0:1], v0 offset0:194 offset1:246
	v_lshrrev_b32_e32 v5, 16, v5
	v_cndmask_b32_e64 v12, v14, v12, s0
	v_and_or_b32 v14, 0xffe, v17, v4
	v_sub_nc_u32_e32 v4, 0x3f1, v19
	v_add_co_u32 v6, s0, v6, s8
	v_and_b32_e32 v13, 7, v12
	v_or_b32_e32 v16, 0x1000, v14
	v_med3_i32 v4, v4, 0, 13
	v_add_co_ci_u32_e64 v7, s0, s9, v7, s0
	v_cmp_lt_i32_e64 s0, 5, v13
	v_cmp_eq_u32_e64 s1, 3, v13
	v_lshrrev_b32_e32 v17, v4, v16
	v_mul_f64 v[8:9], v[8:9], s[4:5]
	global_store_dword v[6:7], v11, off
	v_lshrrev_b32_e32 v11, 2, v12
	s_or_b32 s0, s1, s0
	v_lshlrev_b32_e32 v4, v4, v17
	v_add_nc_u32_e32 v13, 0xfffffc10, v19
	s_waitcnt lgkmcnt(0)
	v_lshrrev_b32_e32 v22, 16, v0
	v_add_co_ci_u32_e64 v12, s0, 0, v11, s0
	v_cmp_ne_u32_e64 s0, v4, v16
	v_cvt_f64_f32_e32 v[10:11], v10
	v_lshl_or_b32 v16, v13, 12, v14
	v_cndmask_b32_e64 v4, 0, 1, s0
	v_cmp_ne_u32_e64 s0, 0, v15
	v_or_b32_e32 v4, v17, v4
	v_cndmask_b32_e64 v15, 0, 1, s0
	v_cmp_gt_i32_e64 s0, 31, v18
	v_and_or_b32 v8, 0x1ff, v9, v8
	v_bfe_u32 v17, v9, 20, 11
	v_lshl_or_b32 v15, v15, 9, 0x7c00
	v_cndmask_b32_e64 v12, 0x7c00, v12, s0
	v_cmp_gt_i32_e64 s0, 1, v13
	v_sub_nc_u32_e32 v19, 0x3f1, v17
	v_add_nc_u32_e32 v17, 0xfffffc10, v17
	v_cndmask_b32_e64 v16, v16, v4, s0
	v_cmp_ne_u32_e64 s0, 0, v8
	v_lshrrev_b32_e32 v8, 8, v9
	v_lshrrev_b32_e32 v9, 16, v9
	v_cndmask_b32_e64 v4, 0, 1, s0
	v_cmp_eq_u32_e64 s0, 0x40f, v18
	v_and_or_b32 v18, 0xffe, v8, v4
	v_cndmask_b32_e64 v12, v12, v15, s0
	v_and_b32_e32 v15, 7, v16
	v_lshrrev_b32_e32 v8, 16, v3
	v_mul_f64 v[3:4], v[10:11], s[4:5]
	v_or_b32_e32 v25, 0x1000, v18
	v_med3_i32 v10, v19, 0, 13
	v_cmp_lt_i32_e64 s0, 5, v15
	v_cmp_eq_u32_e64 s1, 3, v15
	v_and_or_b32 v8, 0x8000, v8, v12
	v_lshrrev_b32_e32 v12, 2, v16
	v_mul_f16_sdwa v11, v71, v22 dst_sel:DWORD dst_unused:UNUSED_PAD src0_sel:WORD_1 src1_sel:DWORD
	v_lshrrev_b32_e32 v15, v10, v25
	s_or_b32 s0, s1, s0
	v_and_b32_e32 v8, 0xffff, v8
	v_add_co_ci_u32_e64 v12, s0, 0, v12, s0
	v_cmp_ne_u32_e64 s0, 0, v14
	v_fmac_f16_e32 v11, v71, v0
	v_lshlrev_b32_e32 v16, v10, v15
	v_mul_f16_sdwa v0, v71, v0 dst_sel:DWORD dst_unused:UNUSED_PAD src0_sel:WORD_1 src1_sel:DWORD
	v_cndmask_b32_e64 v14, 0, 1, s0
	v_cmp_gt_i32_e64 s0, 31, v13
	v_cvt_f32_f16_e32 v11, v11
	v_fma_f16 v0, v71, v22, -v0
	v_and_or_b32 v3, 0x1ff, v4, v3
	v_lshl_or_b32 v14, v14, 9, 0x7c00
	v_cndmask_b32_e64 v12, 0x7c00, v12, s0
	v_cmp_ne_u32_e64 s0, v16, v25
	v_cvt_f64_f32_e32 v[10:11], v11
	v_cvt_f32_f16_e32 v0, v0
	v_cndmask_b32_e64 v16, 0, 1, s0
	v_cmp_eq_u32_e64 s0, 0x40f, v13
	v_or_b32_e32 v13, v15, v16
	v_cndmask_b32_e64 v12, v12, v14, s0
	v_cmp_ne_u32_e64 s0, 0, v3
	v_lshl_or_b32 v14, v17, 12, v18
	v_lshrrev_b32_e32 v15, 8, v4
	v_bfe_u32 v16, v4, 20, 11
	v_and_or_b32 v5, 0x8000, v5, v12
	v_cndmask_b32_e64 v3, 0, 1, s0
	v_cmp_gt_i32_e64 s0, 1, v17
	v_sub_nc_u32_e32 v12, 0x3f1, v16
	v_lshl_or_b32 v19, v5, 16, v8
	v_and_or_b32 v3, 0xffe, v15, v3
	v_cndmask_b32_e64 v13, v14, v13, s0
	v_mul_f64 v[10:11], v[10:11], s[4:5]
	v_med3_i32 v12, v12, 0, 13
	v_add_co_u32 v5, s2, v6, s6
	v_and_b32_e32 v14, 7, v13
	v_or_b32_e32 v15, 0x1000, v3
	v_add_co_ci_u32_e64 v6, s2, s7, v7, s2
	v_lshrrev_b32_e32 v7, 2, v13
	v_cmp_lt_i32_e64 s0, 5, v14
	v_cmp_eq_u32_e64 s1, 3, v14
	v_lshrrev_b32_e32 v14, v12, v15
	s_or_b32 s0, s1, s0
	v_lshlrev_b32_e32 v8, v12, v14
	v_add_co_ci_u32_e64 v12, s0, 0, v7, s0
	v_cmp_ne_u32_e64 s0, v8, v15
	v_and_or_b32 v10, 0x1ff, v11, v10
	v_cvt_f64_f32_e32 v[7:8], v0
	v_add_nc_u32_e32 v0, 0xfffffc10, v16
	v_lshrrev_b32_e32 v15, 8, v11
	v_cndmask_b32_e64 v13, 0, 1, s0
	v_cmp_gt_i32_e64 s0, 31, v17
	v_bfe_u32 v16, v11, 20, 11
	v_lshrrev_b32_e32 v11, 16, v11
	v_or_b32_e32 v13, v14, v13
	v_cndmask_b32_e64 v12, 0x7c00, v12, s0
	v_cmp_ne_u32_e64 s0, 0, v10
	v_lshl_or_b32 v14, v0, 12, v3
	v_cndmask_b32_e64 v10, 0, 1, s0
	v_cmp_ne_u32_e64 s0, 0, v18
	v_cndmask_b32_e64 v18, 0, 1, s0
	v_cmp_gt_i32_e64 s0, 1, v0
	v_mul_f64 v[7:8], v[7:8], s[4:5]
	v_cndmask_b32_e64 v13, v14, v13, s0
	v_and_or_b32 v14, 0xffe, v15, v10
	v_sub_nc_u32_e32 v10, 0x3f1, v16
	v_lshl_or_b32 v15, v18, 9, 0x7c00
	v_cmp_eq_u32_e64 s0, 0x40f, v17
	v_and_b32_e32 v22, 7, v13
	v_or_b32_e32 v25, 0x1000, v14
	v_med3_i32 v10, v10, 0, 13
	v_lshrrev_b32_e32 v18, 16, v2
	v_cndmask_b32_e64 v12, v12, v15, s0
	v_cmp_lt_i32_e64 s0, 5, v22
	v_cmp_eq_u32_e64 s1, 3, v22
	v_lshrrev_b32_e32 v15, v10, v25
	v_mul_f16_sdwa v26, v70, v18 dst_sel:DWORD dst_unused:UNUSED_PAD src0_sel:WORD_1 src1_sel:DWORD
	v_and_or_b32 v12, 0x8000, v9, v12
	v_lshrrev_b32_e32 v9, 2, v13
	s_or_b32 s0, s1, s0
	v_lshlrev_b32_e32 v10, v10, v15
	v_fmac_f16_e32 v26, v70, v2
	v_add_nc_u32_e32 v16, 0xfffffc10, v16
	v_add_co_ci_u32_e64 v17, s0, 0, v9, s0
	v_cmp_ne_u32_e64 s0, v10, v25
	v_cvt_f32_f16_e32 v13, v26
	v_and_or_b32 v7, 0x1ff, v8, v7
	v_and_b32_e32 v12, 0xffff, v12
	v_mul_f16_sdwa v2, v70, v2 dst_sel:DWORD dst_unused:UNUSED_PAD src0_sel:WORD_1 src1_sel:DWORD
	v_cndmask_b32_e64 v22, 0, 1, s0
	v_cmp_ne_u32_e64 s0, 0, v3
	v_cvt_f64_f32_e32 v[9:10], v13
	v_fma_f16 v2, v70, v18, -v2
	v_or_b32_e32 v13, v15, v22
	v_cndmask_b32_e64 v3, 0, 1, s0
	v_cmp_gt_i32_e64 s0, 31, v0
	v_lshl_or_b32 v15, v16, 12, v14
	v_bfe_u32 v22, v8, 20, 11
	v_cvt_f32_f16_e32 v2, v2
	v_lshl_or_b32 v3, v3, 9, 0x7c00
	v_cndmask_b32_e64 v17, 0x7c00, v17, s0
	v_cmp_gt_i32_e64 s0, 1, v16
	v_cndmask_b32_e64 v13, v15, v13, s0
	v_cmp_ne_u32_e64 s0, 0, v7
	v_lshrrev_b32_e32 v15, 8, v8
	v_and_b32_e32 v25, 7, v13
	v_cndmask_b32_e64 v7, 0, 1, s0
	v_cmp_eq_u32_e64 s0, 0x40f, v0
	v_lshrrev_b32_e32 v13, 2, v13
	v_cmp_eq_u32_e64 s1, 3, v25
	v_and_or_b32 v7, 0xffe, v15, v7
	v_sub_nc_u32_e32 v15, 0x3f1, v22
	v_cndmask_b32_e64 v0, v17, v3, s0
	v_cmp_lt_i32_e64 s0, 5, v25
	v_lshrrev_b32_e32 v17, 16, v4
	v_mul_f64 v[3:4], v[9:10], s[4:5]
	v_or_b32_e32 v9, 0x1000, v7
	v_med3_i32 v10, v15, 0, 13
	s_or_b32 s0, s1, s0
	v_and_or_b32 v0, 0x8000, v17, v0
	v_add_co_ci_u32_e64 v13, s0, 0, v13, s0
	v_lshrrev_b32_e32 v15, v10, v9
	v_cmp_ne_u32_e64 s0, 0, v14
	v_lshl_or_b32 v17, v0, 16, v12
	v_lshlrev_b32_e32 v0, v10, v15
	v_cndmask_b32_e64 v14, 0, 1, s0
	v_cmp_gt_i32_e64 s0, 31, v16
	v_lshl_or_b32 v12, v14, 9, 0x7c00
	v_cndmask_b32_e64 v10, 0x7c00, v13, s0
	v_cmp_ne_u32_e64 s0, v0, v9
	v_add_nc_u32_e32 v13, 0xfffffc10, v22
	v_and_or_b32 v3, 0x1ff, v4, v3
	v_lshrrev_b32_e32 v14, 8, v4
	v_cndmask_b32_e64 v0, 0, 1, s0
	v_cmp_eq_u32_e64 s0, 0x40f, v16
	v_lshl_or_b32 v9, v13, 12, v7
	v_lshrrev_b32_e32 v16, 16, v1
	v_or_b32_e32 v0, v15, v0
	v_cndmask_b32_e64 v12, v10, v12, s0
	v_cmp_ne_u32_e64 s0, 0, v3
	v_bfe_u32 v15, v4, 20, 11
	v_cvt_f64_f32_e32 v[2:3], v2
	v_mul_f16_sdwa v26, v69, v16 dst_sel:DWORD dst_unused:UNUSED_PAD src0_sel:WORD_1 src1_sel:DWORD
	v_and_or_b32 v27, 0x8000, v11, v12
	v_cndmask_b32_e64 v10, 0, 1, s0
	v_cmp_gt_i32_e64 s0, 1, v13
	v_lshrrev_b32_e32 v4, 16, v4
	v_fmac_f16_e32 v26, v69, v1
	v_mul_f16_sdwa v1, v69, v1 dst_sel:DWORD dst_unused:UNUSED_PAD src0_sel:WORD_1 src1_sel:DWORD
	v_and_or_b32 v14, 0xffe, v14, v10
	v_cndmask_b32_e64 v0, v9, v0, s0
	v_sub_nc_u32_e32 v9, 0x3f1, v15
	v_cvt_f32_f16_e32 v11, v26
	v_add_nc_u32_e32 v15, 0xfffffc10, v15
	v_or_b32_e32 v22, 0x1000, v14
	v_and_b32_e32 v18, 7, v0
	v_med3_i32 v25, v9, 0, 13
	v_add_co_u32 v9, s0, v5, s8
	v_add_co_ci_u32_e64 v10, s0, s9, v6, s0
	v_lshrrev_b32_e32 v28, v25, v22
	v_cmp_lt_i32_e64 s0, 5, v18
	v_cmp_eq_u32_e64 s1, 3, v18
	v_lshrrev_b32_e32 v0, 2, v0
	v_mul_f64 v[2:3], v[2:3], s[4:5]
	v_lshlrev_b32_e32 v18, v25, v28
	v_cvt_f64_f32_e32 v[11:12], v11
	s_or_b32 s0, s1, s0
	v_fma_f16 v1, v69, v16, -v1
	v_add_co_ci_u32_e64 v0, s0, 0, v0, s0
	v_cmp_ne_u32_e64 s0, v18, v22
	v_lshl_or_b32 v22, v15, 12, v14
	v_cvt_f32_f16_e32 v1, v1
	v_cndmask_b32_e64 v18, 0, 1, s0
	v_cmp_ne_u32_e64 s0, 0, v7
	v_or_b32_e32 v18, v28, v18
	v_cndmask_b32_e64 v7, 0, 1, s0
	v_cmp_gt_i32_e64 s0, 31, v13
	v_and_or_b32 v2, 0x1ff, v3, v2
	v_lshl_or_b32 v7, v7, 9, 0x7c00
	v_cndmask_b32_e64 v0, 0x7c00, v0, s0
	v_cmp_gt_i32_e64 s0, 1, v15
	v_cndmask_b32_e64 v16, v22, v18, s0
	v_cmp_eq_u32_e64 s0, 0x40f, v13
	v_lshrrev_b32_e32 v18, 16, v8
	v_and_b32_e32 v22, 7, v16
	v_cndmask_b32_e64 v13, v0, v7, s0
	v_mul_f64 v[7:8], v[11:12], s[4:5]
	v_cvt_f64_f32_e32 v[0:1], v1
	v_cmp_ne_u32_e64 s0, 0, v2
	v_lshrrev_b32_e32 v11, 8, v3
	v_bfe_u32 v12, v3, 20, 11
	v_cmp_eq_u32_e64 s1, 3, v22
	v_lshrrev_b32_e32 v16, 2, v16
	v_cndmask_b32_e64 v2, 0, 1, s0
	v_cmp_lt_i32_e64 s0, 5, v22
	v_and_or_b32 v13, 0x8000, v18, v13
	v_and_b32_e32 v18, 0xffff, v27
	v_lshrrev_b32_e32 v3, 16, v3
	v_and_or_b32 v2, 0xffe, v11, v2
	v_sub_nc_u32_e32 v11, 0x3f1, v12
	s_or_b32 s0, s1, s0
	v_lshl_or_b32 v13, v13, 16, v18
	v_add_co_ci_u32_e64 v16, s0, 0, v16, s0
	v_or_b32_e32 v18, 0x1000, v2
	v_med3_i32 v11, v11, 0, 13
	v_cmp_ne_u32_e64 s0, 0, v14
	v_add_nc_u32_e32 v12, 0xfffffc10, v12
	v_and_or_b32 v7, 0x1ff, v8, v7
	v_mul_f64 v[0:1], v[0:1], s[4:5]
	v_lshrrev_b32_e32 v22, v11, v18
	v_cndmask_b32_e64 v14, 0, 1, s0
	v_cmp_gt_i32_e64 s0, 31, v15
	v_lshrrev_b32_e32 v25, 8, v8
	v_bfe_u32 v26, v8, 20, 11
	v_lshlrev_b32_e32 v11, v11, v22
	v_lshl_or_b32 v14, v14, 9, 0x7c00
	v_cndmask_b32_e64 v16, 0x7c00, v16, s0
	v_cmp_ne_u32_e64 s0, 0, v7
	v_lshrrev_b32_e32 v8, 16, v8
	v_cndmask_b32_e64 v7, 0, 1, s0
	v_cmp_ne_u32_e64 s0, v11, v18
	v_sub_nc_u32_e32 v18, 0x3f1, v26
	v_and_or_b32 v7, 0xffe, v25, v7
	v_cndmask_b32_e64 v11, 0, 1, s0
	v_cmp_eq_u32_e64 s0, 0x40f, v15
	v_lshl_or_b32 v15, v12, 12, v2
	v_med3_i32 v18, v18, 0, 13
	v_and_or_b32 v0, 0x1ff, v1, v0
	v_or_b32_e32 v11, v22, v11
	v_cndmask_b32_e64 v14, v16, v14, s0
	v_or_b32_e32 v16, 0x1000, v7
	v_cmp_gt_i32_e64 s0, 1, v12
	v_lshrrev_b32_e32 v22, 8, v1
	v_bfe_u32 v25, v1, 20, 11
	v_and_or_b32 v4, 0x8000, v4, v14
	v_lshrrev_b32_e32 v1, 16, v1
	v_cndmask_b32_e64 v11, v15, v11, s0
	v_lshrrev_b32_e32 v15, v18, v16
	v_cmp_ne_u32_e64 s0, 0, v0
	v_sub_nc_u32_e32 v14, 0x3f1, v25
	v_and_b32_e32 v4, 0xffff, v4
	v_and_b32_e32 v27, 7, v11
	v_lshlrev_b32_e32 v18, v18, v15
	v_cndmask_b32_e64 v0, 0, 1, s0
	v_lshrrev_b32_e32 v11, 2, v11
	v_med3_i32 v14, v14, 0, 13
	v_cmp_lt_i32_e64 s0, 5, v27
	v_cmp_ne_u32_e64 s1, v18, v16
	v_and_or_b32 v0, 0xffe, v22, v0
	v_add_nc_u32_e32 v22, 0xfffffc10, v26
	v_cndmask_b32_e64 v16, 0, 1, s1
	v_cmp_eq_u32_e64 s1, 3, v27
	v_or_b32_e32 v18, 0x1000, v0
	v_lshl_or_b32 v26, v22, 12, v7
	v_or_b32_e32 v15, v15, v16
	s_or_b32 s0, s1, s0
	v_lshrrev_b32_e32 v16, v14, v18
	v_add_co_ci_u32_e64 v11, s0, 0, v11, s0
	v_cmp_gt_i32_e64 s0, 1, v22
	v_lshlrev_b32_e32 v14, v14, v16
	v_cndmask_b32_e64 v15, v26, v15, s0
	v_cmp_ne_u32_e64 s0, 0, v2
	v_cndmask_b32_e64 v2, 0, 1, s0
	v_cmp_ne_u32_e64 s0, v14, v18
	v_add_nc_u32_e32 v18, 0xfffffc10, v25
	v_and_b32_e32 v25, 7, v15
	v_lshl_or_b32 v2, v2, 9, 0x7c00
	v_cndmask_b32_e64 v14, 0, 1, s0
	v_cmp_gt_i32_e64 s0, 31, v12
	v_cmp_gt_i32_e64 s2, 1, v18
	v_cmp_eq_u32_e64 s1, 3, v25
	v_or_b32_e32 v14, v16, v14
	v_lshl_or_b32 v16, v18, 12, v0
	v_cndmask_b32_e64 v11, 0x7c00, v11, s0
	v_cmp_lt_i32_e64 s0, 5, v25
	v_cndmask_b32_e64 v14, v16, v14, s2
	v_cmp_eq_u32_e64 s2, 0x40f, v12
	s_or_b32 s0, s1, s0
	v_and_b32_e32 v12, 7, v14
	v_cndmask_b32_e64 v2, v11, v2, s2
	v_lshrrev_b32_e32 v11, 2, v15
	v_cmp_gt_i32_e64 s2, 31, v22
	v_cmp_eq_u32_e64 s1, 3, v12
	v_add_co_ci_u32_e64 v11, s0, 0, v11, s0
	v_cmp_ne_u32_e64 s0, 0, v7
	v_cndmask_b32_e64 v11, 0x7c00, v11, s2
	v_cndmask_b32_e64 v7, 0, 1, s0
	v_cmp_lt_i32_e64 s0, 5, v12
	v_lshrrev_b32_e32 v12, 2, v14
	v_lshl_or_b32 v7, v7, 9, 0x7c00
	s_or_b32 s0, s1, s0
	v_add_co_ci_u32_e64 v12, s0, 0, v12, s0
	v_cmp_ne_u32_e64 s0, 0, v0
	v_cndmask_b32_e64 v0, 0, 1, s0
	v_cmp_eq_u32_e64 s0, 0x40f, v22
	v_lshl_or_b32 v0, v0, 9, 0x7c00
	v_cndmask_b32_e64 v7, v11, v7, s0
	v_cmp_gt_i32_e64 s0, 31, v18
	v_and_or_b32 v7, 0x8000, v8, v7
	v_cndmask_b32_e64 v11, 0x7c00, v12, s0
	v_cmp_eq_u32_e64 s0, 0x40f, v18
	v_and_or_b32 v12, 0x8000, v3, v2
	v_cndmask_b32_e64 v0, v11, v0, s0
	v_add_co_u32 v2, s0, v9, s6
	v_add_co_ci_u32_e64 v3, s0, s7, v10, s0
	v_and_or_b32 v0, 0x8000, v1, v0
	v_and_b32_e32 v1, 0xffff, v7
	v_add_co_u32 v7, s0, v2, s8
	v_add_co_ci_u32_e64 v8, s0, s9, v3, s0
	v_lshl_or_b32 v11, v0, 16, v1
	v_add_co_u32 v0, s0, v7, s6
	v_add_co_ci_u32_e64 v1, s0, s7, v8, s0
	v_lshl_or_b32 v4, v12, 16, v4
	global_store_dword v[5:6], v19, off
	global_store_dword v[9:10], v17, off
	;; [unrolled: 1-line block ×5, first 2 shown]
	s_and_b32 exec_lo, exec_lo, vcc_lo
	s_cbranch_execz .LBB0_31
; %bb.30:
	global_load_dword v2, v[20:21], off offset:32
	ds_read_b32 v3, v68 offset:2080
	ds_read_b32 v6, v68 offset:4264
	s_waitcnt lgkmcnt(1)
	v_lshrrev_b32_e32 v4, 16, v3
	s_waitcnt vmcnt(0)
	v_mul_f16_sdwa v5, v4, v2 dst_sel:DWORD dst_unused:UNUSED_PAD src0_sel:DWORD src1_sel:WORD_1
	v_mul_f16_sdwa v7, v3, v2 dst_sel:DWORD dst_unused:UNUSED_PAD src0_sel:DWORD src1_sel:WORD_1
	v_fmac_f16_e32 v5, v3, v2
	v_fma_f16 v2, v2, v4, -v7
	v_cvt_f32_f16_e32 v3, v5
	v_cvt_f32_f16_e32 v4, v2
	v_cvt_f64_f32_e32 v[2:3], v3
	v_cvt_f64_f32_e32 v[4:5], v4
	v_mul_f64 v[2:3], v[2:3], s[4:5]
	v_mul_f64 v[4:5], v[4:5], s[4:5]
	v_and_or_b32 v2, 0x1ff, v3, v2
	v_and_or_b32 v4, 0x1ff, v5, v4
	v_lshrrev_b32_e32 v7, 8, v3
	v_bfe_u32 v8, v3, 20, 11
	v_lshrrev_b32_e32 v9, 8, v5
	v_cmp_ne_u32_e32 vcc_lo, 0, v2
	v_bfe_u32 v10, v5, 20, 11
	v_lshrrev_b32_e32 v3, 16, v3
	v_sub_nc_u32_e32 v11, 0x3f1, v8
	v_add_nc_u32_e32 v8, 0xfffffc10, v8
	v_cndmask_b32_e64 v2, 0, 1, vcc_lo
	v_cmp_ne_u32_e32 vcc_lo, 0, v4
	v_lshrrev_b32_e32 v5, 16, v5
	v_and_or_b32 v2, 0xffe, v7, v2
	v_cndmask_b32_e64 v4, 0, 1, vcc_lo
	v_sub_nc_u32_e32 v7, 0x3f1, v10
	v_add_nc_u32_e32 v10, 0xfffffc10, v10
	v_and_or_b32 v4, 0xffe, v9, v4
	v_med3_i32 v9, v11, 0, 13
	v_or_b32_e32 v11, 0x1000, v2
	v_med3_i32 v7, v7, 0, 13
	v_or_b32_e32 v12, 0x1000, v4
	v_lshrrev_b32_e32 v13, v9, v11
	v_lshrrev_b32_e32 v14, v7, v12
	v_lshlrev_b32_e32 v9, v9, v13
	v_lshlrev_b32_e32 v7, v7, v14
	v_cmp_ne_u32_e32 vcc_lo, v9, v11
	v_lshl_or_b32 v11, v8, 12, v2
	v_cndmask_b32_e64 v9, 0, 1, vcc_lo
	v_cmp_ne_u32_e32 vcc_lo, v7, v12
	v_lshl_or_b32 v12, v10, 12, v4
	v_or_b32_e32 v9, v13, v9
	v_cndmask_b32_e64 v7, 0, 1, vcc_lo
	v_cmp_gt_i32_e32 vcc_lo, 1, v8
	v_or_b32_e32 v7, v14, v7
	v_cndmask_b32_e32 v9, v11, v9, vcc_lo
	v_cmp_gt_i32_e32 vcc_lo, 1, v10
	v_and_b32_e32 v11, 7, v9
	v_cndmask_b32_e32 v7, v12, v7, vcc_lo
	v_cmp_ne_u32_e32 vcc_lo, 0, v2
	v_lshrrev_b32_e32 v9, 2, v9
	v_cmp_eq_u32_e64 s0, 3, v11
	v_and_b32_e32 v12, 7, v7
	v_cndmask_b32_e64 v2, 0, 1, vcc_lo
	v_cmp_ne_u32_e32 vcc_lo, 0, v4
	v_lshrrev_b32_e32 v7, 2, v7
	v_cmp_lt_i32_e64 s1, 5, v12
	v_cmp_eq_u32_e64 s2, 3, v12
	v_cndmask_b32_e64 v4, 0, 1, vcc_lo
	v_cmp_lt_i32_e32 vcc_lo, 5, v11
	v_lshl_or_b32 v2, v2, 9, 0x7c00
	v_lshl_or_b32 v4, v4, 9, 0x7c00
	s_or_b32 vcc_lo, s0, vcc_lo
	v_add_co_ci_u32_e32 v9, vcc_lo, 0, v9, vcc_lo
	s_or_b32 vcc_lo, s2, s1
	v_add_co_ci_u32_e32 v7, vcc_lo, 0, v7, vcc_lo
	v_cmp_gt_i32_e32 vcc_lo, 31, v8
	v_cndmask_b32_e32 v9, 0x7c00, v9, vcc_lo
	v_cmp_gt_i32_e32 vcc_lo, 31, v10
	v_cndmask_b32_e32 v7, 0x7c00, v7, vcc_lo
	v_cmp_eq_u32_e32 vcc_lo, 0x40f, v8
	v_cndmask_b32_e32 v2, v9, v2, vcc_lo
	v_cmp_eq_u32_e32 vcc_lo, 0x40f, v10
	v_and_or_b32 v2, 0x8000, v3, v2
	v_cndmask_b32_e32 v4, v7, v4, vcc_lo
	v_add_co_u32 v0, vcc_lo, v0, s8
	v_add_co_ci_u32_e32 v1, vcc_lo, s9, v1, vcc_lo
	v_and_or_b32 v3, 0x8000, v5, v4
	v_and_b32_e32 v2, 0xffff, v2
	v_lshl_or_b32 v2, v3, 16, v2
	s_waitcnt lgkmcnt(0)
	v_lshrrev_b32_e32 v3, 16, v6
	global_store_dword v[0:1], v2, off
	global_load_dword v2, v[23:24], off offset:168
	s_waitcnt vmcnt(0)
	v_mul_f16_sdwa v4, v3, v2 dst_sel:DWORD dst_unused:UNUSED_PAD src0_sel:DWORD src1_sel:WORD_1
	v_mul_f16_sdwa v5, v6, v2 dst_sel:DWORD dst_unused:UNUSED_PAD src0_sel:DWORD src1_sel:WORD_1
	v_fmac_f16_e32 v4, v6, v2
	v_fma_f16 v2, v2, v3, -v5
	v_cvt_f32_f16_e32 v3, v4
	v_cvt_f32_f16_e32 v4, v2
	v_cvt_f64_f32_e32 v[2:3], v3
	v_cvt_f64_f32_e32 v[4:5], v4
	v_mul_f64 v[2:3], v[2:3], s[4:5]
	v_mul_f64 v[4:5], v[4:5], s[4:5]
	v_and_or_b32 v2, 0x1ff, v3, v2
	v_and_or_b32 v4, 0x1ff, v5, v4
	v_lshrrev_b32_e32 v6, 8, v3
	v_bfe_u32 v7, v3, 20, 11
	v_lshrrev_b32_e32 v8, 8, v5
	v_cmp_ne_u32_e32 vcc_lo, 0, v2
	v_bfe_u32 v9, v5, 20, 11
	v_lshrrev_b32_e32 v3, 16, v3
	v_sub_nc_u32_e32 v10, 0x3f1, v7
	v_add_nc_u32_e32 v7, 0xfffffc10, v7
	v_cndmask_b32_e64 v2, 0, 1, vcc_lo
	v_cmp_ne_u32_e32 vcc_lo, 0, v4
	v_lshrrev_b32_e32 v5, 16, v5
	v_and_or_b32 v2, 0xffe, v6, v2
	v_cndmask_b32_e64 v4, 0, 1, vcc_lo
	v_sub_nc_u32_e32 v6, 0x3f1, v9
	v_add_nc_u32_e32 v9, 0xfffffc10, v9
	v_and_or_b32 v4, 0xffe, v8, v4
	v_med3_i32 v8, v10, 0, 13
	v_or_b32_e32 v10, 0x1000, v2
	v_med3_i32 v6, v6, 0, 13
	v_or_b32_e32 v11, 0x1000, v4
	v_lshrrev_b32_e32 v12, v8, v10
	v_lshrrev_b32_e32 v13, v6, v11
	v_lshlrev_b32_e32 v8, v8, v12
	v_lshlrev_b32_e32 v6, v6, v13
	v_cmp_ne_u32_e32 vcc_lo, v8, v10
	v_lshl_or_b32 v10, v7, 12, v2
	v_cndmask_b32_e64 v8, 0, 1, vcc_lo
	v_cmp_ne_u32_e32 vcc_lo, v6, v11
	v_lshl_or_b32 v11, v9, 12, v4
	v_or_b32_e32 v8, v12, v8
	v_cndmask_b32_e64 v6, 0, 1, vcc_lo
	v_cmp_gt_i32_e32 vcc_lo, 1, v7
	v_or_b32_e32 v6, v13, v6
	v_cndmask_b32_e32 v8, v10, v8, vcc_lo
	v_cmp_gt_i32_e32 vcc_lo, 1, v9
	v_and_b32_e32 v10, 7, v8
	v_cndmask_b32_e32 v6, v11, v6, vcc_lo
	v_cmp_ne_u32_e32 vcc_lo, 0, v2
	v_lshrrev_b32_e32 v8, 2, v8
	v_cmp_eq_u32_e64 s0, 3, v10
	v_and_b32_e32 v11, 7, v6
	v_cndmask_b32_e64 v2, 0, 1, vcc_lo
	v_cmp_ne_u32_e32 vcc_lo, 0, v4
	v_lshrrev_b32_e32 v6, 2, v6
	v_cmp_lt_i32_e64 s1, 5, v11
	v_cmp_eq_u32_e64 s2, 3, v11
	v_cndmask_b32_e64 v4, 0, 1, vcc_lo
	v_cmp_lt_i32_e32 vcc_lo, 5, v10
	v_lshl_or_b32 v2, v2, 9, 0x7c00
	v_lshl_or_b32 v4, v4, 9, 0x7c00
	s_or_b32 vcc_lo, s0, vcc_lo
	v_add_co_ci_u32_e32 v8, vcc_lo, 0, v8, vcc_lo
	s_or_b32 vcc_lo, s2, s1
	v_add_co_ci_u32_e32 v6, vcc_lo, 0, v6, vcc_lo
	v_cmp_gt_i32_e32 vcc_lo, 31, v7
	v_cndmask_b32_e32 v8, 0x7c00, v8, vcc_lo
	v_cmp_gt_i32_e32 vcc_lo, 31, v9
	v_cndmask_b32_e32 v6, 0x7c00, v6, vcc_lo
	v_cmp_eq_u32_e32 vcc_lo, 0x40f, v7
	v_cndmask_b32_e32 v2, v8, v2, vcc_lo
	v_cmp_eq_u32_e32 vcc_lo, 0x40f, v9
	v_and_or_b32 v2, 0x8000, v3, v2
	v_cndmask_b32_e32 v4, v6, v4, vcc_lo
	v_add_co_u32 v0, vcc_lo, v0, s6
	v_add_co_ci_u32_e32 v1, vcc_lo, s7, v1, vcc_lo
	v_and_or_b32 v3, 0x8000, v5, v4
	v_and_b32_e32 v2, 0xffff, v2
	v_lshl_or_b32 v2, v3, 16, v2
	global_store_dword v[0:1], v2, off
.LBB0_31:
	s_endpgm
	.section	.rodata,"a",@progbits
	.p2align	6, 0x0
	.amdhsa_kernel bluestein_single_back_len1092_dim1_half_op_CI_CI
		.amdhsa_group_segment_fixed_size 4368
		.amdhsa_private_segment_fixed_size 0
		.amdhsa_kernarg_size 104
		.amdhsa_user_sgpr_count 6
		.amdhsa_user_sgpr_private_segment_buffer 1
		.amdhsa_user_sgpr_dispatch_ptr 0
		.amdhsa_user_sgpr_queue_ptr 0
		.amdhsa_user_sgpr_kernarg_segment_ptr 1
		.amdhsa_user_sgpr_dispatch_id 0
		.amdhsa_user_sgpr_flat_scratch_init 0
		.amdhsa_user_sgpr_private_segment_size 0
		.amdhsa_wavefront_size32 1
		.amdhsa_uses_dynamic_stack 0
		.amdhsa_system_sgpr_private_segment_wavefront_offset 0
		.amdhsa_system_sgpr_workgroup_id_x 1
		.amdhsa_system_sgpr_workgroup_id_y 0
		.amdhsa_system_sgpr_workgroup_id_z 0
		.amdhsa_system_sgpr_workgroup_info 0
		.amdhsa_system_vgpr_workitem_id 0
		.amdhsa_next_free_vgpr 254
		.amdhsa_next_free_sgpr 16
		.amdhsa_reserve_vcc 1
		.amdhsa_reserve_flat_scratch 0
		.amdhsa_float_round_mode_32 0
		.amdhsa_float_round_mode_16_64 0
		.amdhsa_float_denorm_mode_32 3
		.amdhsa_float_denorm_mode_16_64 3
		.amdhsa_dx10_clamp 1
		.amdhsa_ieee_mode 1
		.amdhsa_fp16_overflow 0
		.amdhsa_workgroup_processor_mode 1
		.amdhsa_memory_ordered 1
		.amdhsa_forward_progress 0
		.amdhsa_shared_vgpr_count 0
		.amdhsa_exception_fp_ieee_invalid_op 0
		.amdhsa_exception_fp_denorm_src 0
		.amdhsa_exception_fp_ieee_div_zero 0
		.amdhsa_exception_fp_ieee_overflow 0
		.amdhsa_exception_fp_ieee_underflow 0
		.amdhsa_exception_fp_ieee_inexact 0
		.amdhsa_exception_int_div_zero 0
	.end_amdhsa_kernel
	.text
.Lfunc_end0:
	.size	bluestein_single_back_len1092_dim1_half_op_CI_CI, .Lfunc_end0-bluestein_single_back_len1092_dim1_half_op_CI_CI
                                        ; -- End function
	.section	.AMDGPU.csdata,"",@progbits
; Kernel info:
; codeLenInByte = 42760
; NumSgprs: 18
; NumVgprs: 254
; ScratchSize: 0
; MemoryBound: 0
; FloatMode: 240
; IeeeMode: 1
; LDSByteSize: 4368 bytes/workgroup (compile time only)
; SGPRBlocks: 2
; VGPRBlocks: 31
; NumSGPRsForWavesPerEU: 18
; NumVGPRsForWavesPerEU: 254
; Occupancy: 4
; WaveLimiterHint : 1
; COMPUTE_PGM_RSRC2:SCRATCH_EN: 0
; COMPUTE_PGM_RSRC2:USER_SGPR: 6
; COMPUTE_PGM_RSRC2:TRAP_HANDLER: 0
; COMPUTE_PGM_RSRC2:TGID_X_EN: 1
; COMPUTE_PGM_RSRC2:TGID_Y_EN: 0
; COMPUTE_PGM_RSRC2:TGID_Z_EN: 0
; COMPUTE_PGM_RSRC2:TIDIG_COMP_CNT: 0
	.text
	.p2alignl 6, 3214868480
	.fill 48, 4, 3214868480
	.type	__hip_cuid_1d1c8984681d26c8,@object ; @__hip_cuid_1d1c8984681d26c8
	.section	.bss,"aw",@nobits
	.globl	__hip_cuid_1d1c8984681d26c8
__hip_cuid_1d1c8984681d26c8:
	.byte	0                               ; 0x0
	.size	__hip_cuid_1d1c8984681d26c8, 1

	.ident	"AMD clang version 19.0.0git (https://github.com/RadeonOpenCompute/llvm-project roc-6.4.0 25133 c7fe45cf4b819c5991fe208aaa96edf142730f1d)"
	.section	".note.GNU-stack","",@progbits
	.addrsig
	.addrsig_sym __hip_cuid_1d1c8984681d26c8
	.amdgpu_metadata
---
amdhsa.kernels:
  - .args:
      - .actual_access:  read_only
        .address_space:  global
        .offset:         0
        .size:           8
        .value_kind:     global_buffer
      - .actual_access:  read_only
        .address_space:  global
        .offset:         8
        .size:           8
        .value_kind:     global_buffer
      - .actual_access:  read_only
        .address_space:  global
        .offset:         16
        .size:           8
        .value_kind:     global_buffer
      - .actual_access:  read_only
        .address_space:  global
        .offset:         24
        .size:           8
        .value_kind:     global_buffer
      - .actual_access:  read_only
        .address_space:  global
        .offset:         32
        .size:           8
        .value_kind:     global_buffer
      - .offset:         40
        .size:           8
        .value_kind:     by_value
      - .address_space:  global
        .offset:         48
        .size:           8
        .value_kind:     global_buffer
      - .address_space:  global
        .offset:         56
        .size:           8
        .value_kind:     global_buffer
      - .address_space:  global
        .offset:         64
        .size:           8
        .value_kind:     global_buffer
      - .address_space:  global
        .offset:         72
        .size:           8
        .value_kind:     global_buffer
      - .offset:         80
        .size:           4
        .value_kind:     by_value
      - .address_space:  global
        .offset:         88
        .size:           8
        .value_kind:     global_buffer
      - .address_space:  global
        .offset:         96
        .size:           8
        .value_kind:     global_buffer
    .group_segment_fixed_size: 4368
    .kernarg_segment_align: 8
    .kernarg_segment_size: 104
    .language:       OpenCL C
    .language_version:
      - 2
      - 0
    .max_flat_workgroup_size: 52
    .name:           bluestein_single_back_len1092_dim1_half_op_CI_CI
    .private_segment_fixed_size: 0
    .sgpr_count:     18
    .sgpr_spill_count: 0
    .symbol:         bluestein_single_back_len1092_dim1_half_op_CI_CI.kd
    .uniform_work_group_size: 1
    .uses_dynamic_stack: false
    .vgpr_count:     254
    .vgpr_spill_count: 0
    .wavefront_size: 32
    .workgroup_processor_mode: 1
amdhsa.target:   amdgcn-amd-amdhsa--gfx1030
amdhsa.version:
  - 1
  - 2
...

	.end_amdgpu_metadata
